;; amdgpu-corpus repo=ROCm/rocBLAS kind=compiled arch=gfx906 opt=O3
	.amdgcn_target "amdgcn-amd-amdhsa--gfx906"
	.amdhsa_code_object_version 6
	.section	.text._ZL19rocblas_her2_kernelIiLi512EPK19rocblas_complex_numIfES3_PS1_EvbimT1_T2_lT_lS6_lS7_lT3_lS7_li,"axG",@progbits,_ZL19rocblas_her2_kernelIiLi512EPK19rocblas_complex_numIfES3_PS1_EvbimT1_T2_lT_lS6_lS7_lT3_lS7_li,comdat
	.globl	_ZL19rocblas_her2_kernelIiLi512EPK19rocblas_complex_numIfES3_PS1_EvbimT1_T2_lT_lS6_lS7_lT3_lS7_li ; -- Begin function _ZL19rocblas_her2_kernelIiLi512EPK19rocblas_complex_numIfES3_PS1_EvbimT1_T2_lT_lS6_lS7_lT3_lS7_li
	.p2align	8
	.type	_ZL19rocblas_her2_kernelIiLi512EPK19rocblas_complex_numIfES3_PS1_EvbimT1_T2_lT_lS6_lS7_lT3_lS7_li,@function
_ZL19rocblas_her2_kernelIiLi512EPK19rocblas_complex_numIfES3_PS1_EvbimT1_T2_lT_lS6_lS7_lT3_lS7_li: ; @_ZL19rocblas_her2_kernelIiLi512EPK19rocblas_complex_numIfES3_PS1_EvbimT1_T2_lT_lS6_lS7_lT3_lS7_li
; %bb.0:
	s_load_dwordx8 s[8:15], s[4:5], 0x8
	s_waitcnt lgkmcnt(0)
	s_load_dwordx2 s[20:21], s[10:11], 0x0
	s_waitcnt lgkmcnt(0)
	v_cmp_neq_f32_e64 s[0:1], s20, 0
	v_cmp_neq_f32_e64 s[2:3], s21, 0
	s_or_b64 s[0:1], s[0:1], s[2:3]
	s_andn2_b64 vcc, exec, s[0:1]
	s_cbranch_vccnz .LBB0_8
; %bb.1:
	s_load_dword s0, s[4:5], 0x8c
	v_mov_b32_e32 v1, 0
	v_mov_b32_e32 v2, s6
	s_waitcnt lgkmcnt(0)
	s_and_b32 s0, s0, 0xffff
	v_mad_u64_u32 v[0:1], s[0:1], s0, v2, v[0:1]
	v_cmp_gt_u64_e32 vcc, s[8:9], v[0:1]
	s_and_saveexec_b64 s[0:1], vcc
	s_cbranch_execz .LBB0_8
; %bb.2:
	s_load_dwordx2 s[10:11], s[4:5], 0x0
	s_load_dword s6, s[4:5], 0x28
	s_load_dwordx2 s[24:25], s[4:5], 0x70
	s_load_dwordx4 s[0:3], s[4:5], 0x30
	s_load_dwordx2 s[26:27], s[4:5], 0x40
	s_load_dwordx4 s[16:19], s[4:5], 0x50
	s_load_dwordx2 s[28:29], s[4:5], 0x60
	s_load_dword s22, s[4:5], 0x68
	s_waitcnt lgkmcnt(0)
	s_mul_i32 s23, s25, s7
	s_mul_hi_u32 s25, s24, s7
	s_add_i32 s25, s25, s23
	s_mul_i32 s24, s24, s7
	s_lshl_b64 s[24:25], s[24:25], 3
	s_add_u32 s18, s18, s24
	s_load_dword s23, s[4:5], 0x48
	s_addc_u32 s19, s19, s25
	s_lshl_b64 s[4:5], s[28:29], 3
	s_add_u32 s4, s18, s4
	s_mul_i32 s1, s1, s7
	s_mul_hi_u32 s18, s0, s7
	s_addc_u32 s5, s19, s5
	s_add_i32 s1, s18, s1
	s_mul_i32 s0, s0, s7
	s_lshl_b64 s[0:1], s[0:1], 3
	s_add_u32 s12, s12, s0
	s_addc_u32 s13, s13, s1
	s_lshl_b64 s[0:1], s[14:15], 3
	s_add_u32 s12, s12, s0
	s_addc_u32 s13, s13, s1
	s_mul_i32 s0, s17, s7
	s_mul_hi_u32 s1, s16, s7
	s_add_i32 s1, s1, s0
	s_mul_i32 s0, s16, s7
	s_lshl_b64 s[0:1], s[0:1], 3
	s_add_u32 s2, s2, s0
	s_addc_u32 s3, s3, s1
	s_lshl_b64 s[0:1], s[26:27], 3
	s_add_u32 s7, s2, s0
	v_not_b32_e32 v3, v0
	s_addc_u32 s14, s3, s1
	v_not_b32_e32 v2, v1
	v_mov_b32_e32 v4, s9
	v_add_co_u32_e32 v3, vcc, s8, v3
	s_bitcmp1_b32 s10, 0
	v_addc_co_u32_e32 v2, vcc, v4, v2, vcc
	s_cselect_b64 vcc, -1, 0
	v_cndmask_b32_e32 v1, v2, v1, vcc
	v_cndmask_b32_e32 v0, v3, v0, vcc
	v_lshlrev_b64 v[1:2], 3, v[0:1]
	s_mov_b32 s0, 0
	v_cvt_f64_u32_e32 v[2:3], v2
	v_or_b32_e32 v1, 1, v1
	v_cvt_f64_u32_e32 v[4:5], v1
	s_brev_b32 s1, 8
	v_ldexp_f64 v[2:3], v[2:3], 32
	v_add_f64 v[1:2], v[2:3], v[4:5]
	v_mov_b32_e32 v3, 0x100
	v_cmp_gt_f64_e64 s[0:1], s[0:1], v[1:2]
	v_cndmask_b32_e64 v3, 0, v3, s[0:1]
	v_ldexp_f64 v[1:2], v[1:2], v3
	v_rsq_f64_e32 v[3:4], v[1:2]
	v_mul_f64 v[5:6], v[1:2], v[3:4]
	v_mul_f64 v[3:4], v[3:4], 0.5
	v_fma_f64 v[7:8], -v[3:4], v[5:6], 0.5
	v_fma_f64 v[5:6], v[5:6], v[7:8], v[5:6]
	v_fma_f64 v[3:4], v[3:4], v[7:8], v[3:4]
	v_fma_f64 v[7:8], -v[5:6], v[5:6], v[1:2]
	v_fma_f64 v[5:6], v[7:8], v[3:4], v[5:6]
	v_fma_f64 v[7:8], -v[5:6], v[5:6], v[1:2]
	v_fma_f64 v[3:4], v[7:8], v[3:4], v[5:6]
	v_mov_b32_e32 v5, 0xffffff80
	v_mov_b32_e32 v6, 0x260
	v_cndmask_b32_e64 v5, 0, v5, s[0:1]
	v_cmp_class_f64_e64 s[0:1], v[1:2], v6
	v_ldexp_f64 v[3:4], v[3:4], v5
	v_cndmask_b32_e64 v2, v4, v2, s[0:1]
	v_cndmask_b32_e64 v1, v3, v1, s[0:1]
	v_add_f64 v[1:2], v[1:2], -1.0
	v_cvt_i32_f64_e32 v1, v[1:2]
	v_lshrrev_b32_e32 v2, 31, v1
	v_add_u32_e32 v1, v1, v2
	v_ashrrev_i32_e32 v1, 1, v1
	v_add_u32_e32 v2, 1, v1
	v_mad_i64_i32 v[3:4], s[0:1], v2, v1, 0
	s_add_i32 s0, s11, -1
	v_sub_u32_e32 v2, s0, v1
	v_alignbit_b32 v3, v4, v3, 1
	v_sub_u32_e32 v3, v0, v3
	v_sub_u32_e32 v0, s0, v3
	v_cndmask_b32_e32 v2, v2, v1, vcc
	v_cndmask_b32_e32 v0, v0, v3, vcc
	v_cmp_le_i32_e32 vcc, v1, v3
	s_and_saveexec_b64 s[0:1], vcc
	s_xor_b64 s[0:1], exec, s[0:1]
	s_cbranch_execz .LBB0_6
; %bb.3:
	v_cmp_eq_u32_e32 vcc, v0, v2
	s_and_saveexec_b64 s[2:3], vcc
	s_cbranch_execz .LBB0_5
; %bb.4:
	v_mad_i64_i32 v[1:2], s[8:9], v0, s6, 0
	s_waitcnt lgkmcnt(0)
	v_mad_i64_i32 v[5:6], s[8:9], v0, s23, 0
	v_lshlrev_b64 v[1:2], 3, v[1:2]
	v_mov_b32_e32 v7, s13
	v_add_co_u32_e32 v1, vcc, s12, v1
	v_addc_co_u32_e32 v2, vcc, v7, v2, vcc
	v_mad_i64_i32 v[3:4], s[8:9], v0, s22, 0
	global_load_dwordx2 v[7:8], v[1:2], off
	v_lshlrev_b64 v[1:2], 3, v[5:6]
	v_mov_b32_e32 v5, s14
	v_add_co_u32_e32 v1, vcc, s7, v1
	v_addc_co_u32_e32 v2, vcc, v5, v2, vcc
	global_load_dwordx2 v[5:6], v[1:2], off
	v_lshlrev_b64 v[2:3], 3, v[3:4]
	v_ashrrev_i32_e32 v1, 31, v0
	v_mov_b32_e32 v4, s5
	v_add_co_u32_e32 v2, vcc, s4, v2
	v_lshlrev_b64 v[0:1], 3, v[0:1]
	v_addc_co_u32_e32 v3, vcc, v4, v3, vcc
	v_add_co_u32_e32 v0, vcc, v2, v0
	v_addc_co_u32_e32 v1, vcc, v3, v1, vcc
	global_load_dword v2, v[0:1], off
	s_waitcnt vmcnt(2)
	v_mul_f32_e32 v4, s20, v8
	v_mul_f32_e32 v3, s21, v8
	v_fmac_f32_e32 v4, s21, v7
	v_fma_f32 v3, s20, v7, -v3
	s_waitcnt vmcnt(1)
	v_mul_f32_e32 v9, s21, v6
	v_mul_f32_e32 v10, s21, v5
	v_fmac_f32_e32 v9, s20, v5
	v_fma_f32 v10, s20, v6, -v10
	v_mul_f32_e32 v11, v6, v4
	v_mul_f32_e32 v6, v6, v3
	;; [unrolled: 1-line block ×4, first 2 shown]
	v_fmac_f32_e32 v11, v5, v3
	v_fma_f32 v3, v5, v4, -v6
	v_fmac_f32_e32 v12, v7, v9
	v_fma_f32 v4, v7, v10, -v8
	v_add_f32_e32 v3, v3, v4
	s_waitcnt vmcnt(0)
	v_add_f32_e32 v2, v2, v11
	v_add_f32_e32 v2, v2, v12
	global_store_dwordx2 v[0:1], v[2:3], off
.LBB0_5:
	s_or_b64 exec, exec, s[2:3]
                                        ; implicit-def: $vgpr0
                                        ; implicit-def: $vgpr2
.LBB0_6:
	s_andn2_saveexec_b64 s[0:1], s[0:1]
	s_cbranch_execz .LBB0_8
; %bb.7:
	v_mad_i64_i32 v[3:4], s[0:1], v0, s6, 0
	s_waitcnt lgkmcnt(0)
	v_mad_i64_i32 v[5:6], s[0:1], v2, s23, 0
	v_lshlrev_b64 v[3:4], 3, v[3:4]
	v_mov_b32_e32 v7, s13
	v_add_co_u32_e32 v3, vcc, s12, v3
	v_addc_co_u32_e32 v4, vcc, v7, v4, vcc
	v_mad_i64_i32 v[7:8], s[0:1], v0, s23, 0
	v_lshlrev_b64 v[5:6], 3, v[5:6]
	v_mov_b32_e32 v9, s14
	v_add_co_u32_e32 v5, vcc, s7, v5
	v_lshlrev_b64 v[7:8], 3, v[7:8]
	v_addc_co_u32_e32 v6, vcc, v9, v6, vcc
	v_mov_b32_e32 v11, s14
	v_mad_i64_i32 v[9:10], s[0:1], v2, s6, 0
	v_add_co_u32_e32 v7, vcc, s7, v7
	v_addc_co_u32_e32 v8, vcc, v11, v8, vcc
	global_load_dwordx2 v[3:4], v[3:4], off
	s_nop 0
	global_load_dwordx2 v[11:12], v[5:6], off
	global_load_dwordx2 v[13:14], v[7:8], off
	v_mad_i64_i32 v[7:8], s[0:1], v2, s22, 0
	v_lshlrev_b64 v[5:6], 3, v[9:10]
	v_mov_b32_e32 v9, s13
	v_add_co_u32_e32 v5, vcc, s12, v5
	v_lshlrev_b64 v[7:8], 3, v[7:8]
	v_ashrrev_i32_e32 v1, 31, v0
	v_addc_co_u32_e32 v6, vcc, v9, v6, vcc
	v_mov_b32_e32 v2, s5
	v_add_co_u32_e32 v7, vcc, s4, v7
	v_lshlrev_b64 v[0:1], 3, v[0:1]
	global_load_dwordx2 v[5:6], v[5:6], off
	v_addc_co_u32_e32 v2, vcc, v2, v8, vcc
	v_add_co_u32_e32 v0, vcc, v7, v0
	v_addc_co_u32_e32 v1, vcc, v2, v1, vcc
	global_load_dwordx2 v[7:8], v[0:1], off
	s_waitcnt vmcnt(4)
	v_mul_f32_e32 v2, s21, v4
	v_mul_f32_e32 v4, s20, v4
	s_waitcnt vmcnt(2)
	v_mul_f32_e32 v9, s21, v14
	v_mul_f32_e32 v10, s21, v13
	v_fma_f32 v2, s20, v3, -v2
	v_fmac_f32_e32 v4, s21, v3
	v_fmac_f32_e32 v9, s20, v13
	v_fma_f32 v3, s20, v14, -v10
	v_mul_f32_e32 v10, v12, v4
	v_mul_f32_e32 v12, v12, v2
	v_fmac_f32_e32 v10, v11, v2
	v_fma_f32 v2, v11, v4, -v12
	s_waitcnt vmcnt(1)
	v_mul_f32_e32 v13, v6, v3
	v_mul_f32_e32 v6, v6, v9
	v_fmac_f32_e32 v13, v5, v9
	v_fma_f32 v3, v5, v3, -v6
	v_add_f32_e32 v4, v10, v13
	v_add_f32_e32 v3, v2, v3
	s_waitcnt vmcnt(0)
	v_add_f32_e32 v2, v7, v4
	v_add_f32_e32 v3, v8, v3
	global_store_dwordx2 v[0:1], v[2:3], off
.LBB0_8:
	s_endpgm
	.section	.rodata,"a",@progbits
	.p2align	6, 0x0
	.amdhsa_kernel _ZL19rocblas_her2_kernelIiLi512EPK19rocblas_complex_numIfES3_PS1_EvbimT1_T2_lT_lS6_lS7_lT3_lS7_li
		.amdhsa_group_segment_fixed_size 0
		.amdhsa_private_segment_fixed_size 0
		.amdhsa_kernarg_size 384
		.amdhsa_user_sgpr_count 6
		.amdhsa_user_sgpr_private_segment_buffer 1
		.amdhsa_user_sgpr_dispatch_ptr 0
		.amdhsa_user_sgpr_queue_ptr 0
		.amdhsa_user_sgpr_kernarg_segment_ptr 1
		.amdhsa_user_sgpr_dispatch_id 0
		.amdhsa_user_sgpr_flat_scratch_init 0
		.amdhsa_user_sgpr_private_segment_size 0
		.amdhsa_uses_dynamic_stack 0
		.amdhsa_system_sgpr_private_segment_wavefront_offset 0
		.amdhsa_system_sgpr_workgroup_id_x 1
		.amdhsa_system_sgpr_workgroup_id_y 0
		.amdhsa_system_sgpr_workgroup_id_z 1
		.amdhsa_system_sgpr_workgroup_info 0
		.amdhsa_system_vgpr_workitem_id 0
		.amdhsa_next_free_vgpr 15
		.amdhsa_next_free_sgpr 30
		.amdhsa_reserve_vcc 1
		.amdhsa_reserve_flat_scratch 0
		.amdhsa_float_round_mode_32 0
		.amdhsa_float_round_mode_16_64 0
		.amdhsa_float_denorm_mode_32 3
		.amdhsa_float_denorm_mode_16_64 3
		.amdhsa_dx10_clamp 1
		.amdhsa_ieee_mode 1
		.amdhsa_fp16_overflow 0
		.amdhsa_exception_fp_ieee_invalid_op 0
		.amdhsa_exception_fp_denorm_src 0
		.amdhsa_exception_fp_ieee_div_zero 0
		.amdhsa_exception_fp_ieee_overflow 0
		.amdhsa_exception_fp_ieee_underflow 0
		.amdhsa_exception_fp_ieee_inexact 0
		.amdhsa_exception_int_div_zero 0
	.end_amdhsa_kernel
	.section	.text._ZL19rocblas_her2_kernelIiLi512EPK19rocblas_complex_numIfES3_PS1_EvbimT1_T2_lT_lS6_lS7_lT3_lS7_li,"axG",@progbits,_ZL19rocblas_her2_kernelIiLi512EPK19rocblas_complex_numIfES3_PS1_EvbimT1_T2_lT_lS6_lS7_lT3_lS7_li,comdat
.Lfunc_end0:
	.size	_ZL19rocblas_her2_kernelIiLi512EPK19rocblas_complex_numIfES3_PS1_EvbimT1_T2_lT_lS6_lS7_lT3_lS7_li, .Lfunc_end0-_ZL19rocblas_her2_kernelIiLi512EPK19rocblas_complex_numIfES3_PS1_EvbimT1_T2_lT_lS6_lS7_lT3_lS7_li
                                        ; -- End function
	.set _ZL19rocblas_her2_kernelIiLi512EPK19rocblas_complex_numIfES3_PS1_EvbimT1_T2_lT_lS6_lS7_lT3_lS7_li.num_vgpr, 15
	.set _ZL19rocblas_her2_kernelIiLi512EPK19rocblas_complex_numIfES3_PS1_EvbimT1_T2_lT_lS6_lS7_lT3_lS7_li.num_agpr, 0
	.set _ZL19rocblas_her2_kernelIiLi512EPK19rocblas_complex_numIfES3_PS1_EvbimT1_T2_lT_lS6_lS7_lT3_lS7_li.numbered_sgpr, 30
	.set _ZL19rocblas_her2_kernelIiLi512EPK19rocblas_complex_numIfES3_PS1_EvbimT1_T2_lT_lS6_lS7_lT3_lS7_li.num_named_barrier, 0
	.set _ZL19rocblas_her2_kernelIiLi512EPK19rocblas_complex_numIfES3_PS1_EvbimT1_T2_lT_lS6_lS7_lT3_lS7_li.private_seg_size, 0
	.set _ZL19rocblas_her2_kernelIiLi512EPK19rocblas_complex_numIfES3_PS1_EvbimT1_T2_lT_lS6_lS7_lT3_lS7_li.uses_vcc, 1
	.set _ZL19rocblas_her2_kernelIiLi512EPK19rocblas_complex_numIfES3_PS1_EvbimT1_T2_lT_lS6_lS7_lT3_lS7_li.uses_flat_scratch, 0
	.set _ZL19rocblas_her2_kernelIiLi512EPK19rocblas_complex_numIfES3_PS1_EvbimT1_T2_lT_lS6_lS7_lT3_lS7_li.has_dyn_sized_stack, 0
	.set _ZL19rocblas_her2_kernelIiLi512EPK19rocblas_complex_numIfES3_PS1_EvbimT1_T2_lT_lS6_lS7_lT3_lS7_li.has_recursion, 0
	.set _ZL19rocblas_her2_kernelIiLi512EPK19rocblas_complex_numIfES3_PS1_EvbimT1_T2_lT_lS6_lS7_lT3_lS7_li.has_indirect_call, 0
	.section	.AMDGPU.csdata,"",@progbits
; Kernel info:
; codeLenInByte = 1224
; TotalNumSgprs: 34
; NumVgprs: 15
; ScratchSize: 0
; MemoryBound: 0
; FloatMode: 240
; IeeeMode: 1
; LDSByteSize: 0 bytes/workgroup (compile time only)
; SGPRBlocks: 4
; VGPRBlocks: 3
; NumSGPRsForWavesPerEU: 34
; NumVGPRsForWavesPerEU: 15
; Occupancy: 10
; WaveLimiterHint : 1
; COMPUTE_PGM_RSRC2:SCRATCH_EN: 0
; COMPUTE_PGM_RSRC2:USER_SGPR: 6
; COMPUTE_PGM_RSRC2:TRAP_HANDLER: 0
; COMPUTE_PGM_RSRC2:TGID_X_EN: 1
; COMPUTE_PGM_RSRC2:TGID_Y_EN: 0
; COMPUTE_PGM_RSRC2:TGID_Z_EN: 1
; COMPUTE_PGM_RSRC2:TIDIG_COMP_CNT: 0
	.section	.text._ZL19rocblas_her2_kernelIiLi512E19rocblas_complex_numIfEPKS1_PS1_EvbimT1_T2_lT_lS6_lS7_lT3_lS7_li,"axG",@progbits,_ZL19rocblas_her2_kernelIiLi512E19rocblas_complex_numIfEPKS1_PS1_EvbimT1_T2_lT_lS6_lS7_lT3_lS7_li,comdat
	.globl	_ZL19rocblas_her2_kernelIiLi512E19rocblas_complex_numIfEPKS1_PS1_EvbimT1_T2_lT_lS6_lS7_lT3_lS7_li ; -- Begin function _ZL19rocblas_her2_kernelIiLi512E19rocblas_complex_numIfEPKS1_PS1_EvbimT1_T2_lT_lS6_lS7_lT3_lS7_li
	.p2align	8
	.type	_ZL19rocblas_her2_kernelIiLi512E19rocblas_complex_numIfEPKS1_PS1_EvbimT1_T2_lT_lS6_lS7_lT3_lS7_li,@function
_ZL19rocblas_her2_kernelIiLi512E19rocblas_complex_numIfEPKS1_PS1_EvbimT1_T2_lT_lS6_lS7_lT3_lS7_li: ; @_ZL19rocblas_her2_kernelIiLi512E19rocblas_complex_numIfEPKS1_PS1_EvbimT1_T2_lT_lS6_lS7_lT3_lS7_li
; %bb.0:
	s_load_dwordx2 s[16:17], s[4:5], 0x10
	s_waitcnt lgkmcnt(0)
	v_cmp_neq_f32_e64 s[0:1], s16, 0
	v_cmp_neq_f32_e64 s[2:3], s17, 0
	s_or_b64 s[0:1], s[0:1], s[2:3]
	s_andn2_b64 vcc, exec, s[0:1]
	s_cbranch_vccnz .LBB1_8
; %bb.1:
	s_load_dword s0, s[4:5], 0x8c
	s_load_dwordx2 s[20:21], s[4:5], 0x8
	v_mov_b32_e32 v1, 0
	v_mov_b32_e32 v2, s6
	s_waitcnt lgkmcnt(0)
	s_and_b32 s0, s0, 0xffff
	v_mad_u64_u32 v[0:1], s[0:1], s0, v2, v[0:1]
	v_cmp_gt_u64_e32 vcc, s[20:21], v[0:1]
	s_and_saveexec_b64 s[0:1], vcc
	s_cbranch_execz .LBB1_8
; %bb.2:
	s_load_dwordx2 s[18:19], s[4:5], 0x0
	s_load_dwordx4 s[8:11], s[4:5], 0x18
	s_load_dwordx4 s[0:3], s[4:5], 0x30
	s_load_dwordx2 s[22:23], s[4:5], 0x70
	s_load_dwordx2 s[24:25], s[4:5], 0x40
	s_load_dwordx4 s[12:15], s[4:5], 0x50
	s_load_dwordx2 s[26:27], s[4:5], 0x60
	s_load_dword s6, s[4:5], 0x68
	s_waitcnt lgkmcnt(0)
	s_mul_i32 s23, s23, s7
	s_mul_hi_u32 s28, s22, s7
	s_add_i32 s23, s28, s23
	s_mul_i32 s22, s22, s7
	s_lshl_b64 s[22:23], s[22:23], 3
	s_add_u32 s22, s14, s22
	s_addc_u32 s23, s15, s23
	s_lshl_b64 s[14:15], s[26:27], 3
	s_add_u32 s14, s22, s14
	s_mul_i32 s1, s1, s7
	s_mul_hi_u32 s22, s0, s7
	s_addc_u32 s15, s23, s15
	s_add_i32 s1, s22, s1
	s_mul_i32 s0, s0, s7
	s_lshl_b64 s[0:1], s[0:1], 3
	s_add_u32 s8, s8, s0
	s_addc_u32 s9, s9, s1
	s_lshl_b64 s[0:1], s[10:11], 3
	s_add_u32 s8, s8, s0
	s_addc_u32 s9, s9, s1
	s_mul_i32 s0, s13, s7
	s_mul_hi_u32 s1, s12, s7
	s_add_i32 s1, s1, s0
	s_mul_i32 s0, s12, s7
	s_lshl_b64 s[0:1], s[0:1], 3
	s_add_u32 s2, s2, s0
	s_addc_u32 s3, s3, s1
	s_lshl_b64 s[0:1], s[24:25], 3
	s_add_u32 s7, s2, s0
	v_not_b32_e32 v3, v0
	s_addc_u32 s10, s3, s1
	v_not_b32_e32 v2, v1
	v_mov_b32_e32 v4, s21
	v_add_co_u32_e32 v3, vcc, s20, v3
	s_bitcmp1_b32 s18, 0
	v_addc_co_u32_e32 v2, vcc, v4, v2, vcc
	s_cselect_b64 vcc, -1, 0
	v_cndmask_b32_e32 v1, v2, v1, vcc
	v_cndmask_b32_e32 v0, v3, v0, vcc
	v_lshlrev_b64 v[1:2], 3, v[0:1]
	s_mov_b32 s0, 0
	v_cvt_f64_u32_e32 v[2:3], v2
	v_or_b32_e32 v1, 1, v1
	v_cvt_f64_u32_e32 v[4:5], v1
	s_brev_b32 s1, 8
	v_ldexp_f64 v[2:3], v[2:3], 32
	s_load_dword s11, s[4:5], 0x48
	v_add_f64 v[1:2], v[2:3], v[4:5]
	v_mov_b32_e32 v3, 0x100
	s_load_dword s4, s[4:5], 0x28
	v_cmp_gt_f64_e64 s[0:1], s[0:1], v[1:2]
	v_cndmask_b32_e64 v3, 0, v3, s[0:1]
	v_ldexp_f64 v[1:2], v[1:2], v3
	v_rsq_f64_e32 v[3:4], v[1:2]
	v_mul_f64 v[5:6], v[1:2], v[3:4]
	v_mul_f64 v[3:4], v[3:4], 0.5
	v_fma_f64 v[7:8], -v[3:4], v[5:6], 0.5
	v_fma_f64 v[5:6], v[5:6], v[7:8], v[5:6]
	v_fma_f64 v[3:4], v[3:4], v[7:8], v[3:4]
	v_fma_f64 v[7:8], -v[5:6], v[5:6], v[1:2]
	v_fma_f64 v[5:6], v[7:8], v[3:4], v[5:6]
	v_fma_f64 v[7:8], -v[5:6], v[5:6], v[1:2]
	v_fma_f64 v[3:4], v[7:8], v[3:4], v[5:6]
	v_mov_b32_e32 v5, 0xffffff80
	v_mov_b32_e32 v6, 0x260
	v_cndmask_b32_e64 v5, 0, v5, s[0:1]
	v_cmp_class_f64_e64 s[0:1], v[1:2], v6
	v_ldexp_f64 v[3:4], v[3:4], v5
	v_cndmask_b32_e64 v2, v4, v2, s[0:1]
	v_cndmask_b32_e64 v1, v3, v1, s[0:1]
	v_add_f64 v[1:2], v[1:2], -1.0
	v_cvt_i32_f64_e32 v1, v[1:2]
	v_lshrrev_b32_e32 v2, 31, v1
	v_add_u32_e32 v1, v1, v2
	v_ashrrev_i32_e32 v1, 1, v1
	v_add_u32_e32 v2, 1, v1
	v_mad_i64_i32 v[3:4], s[0:1], v2, v1, 0
	s_add_i32 s0, s19, -1
	v_sub_u32_e32 v2, s0, v1
	v_alignbit_b32 v3, v4, v3, 1
	v_sub_u32_e32 v3, v0, v3
	v_sub_u32_e32 v0, s0, v3
	v_cndmask_b32_e32 v2, v2, v1, vcc
	v_cndmask_b32_e32 v0, v0, v3, vcc
	v_cmp_le_i32_e32 vcc, v1, v3
	s_and_saveexec_b64 s[0:1], vcc
	s_xor_b64 s[0:1], exec, s[0:1]
	s_cbranch_execz .LBB1_6
; %bb.3:
	v_cmp_eq_u32_e32 vcc, v0, v2
	s_and_saveexec_b64 s[2:3], vcc
	s_cbranch_execz .LBB1_5
; %bb.4:
	s_waitcnt lgkmcnt(0)
	v_mad_i64_i32 v[1:2], s[12:13], v0, s4, 0
	v_mad_i64_i32 v[5:6], s[12:13], v0, s11, 0
	v_lshlrev_b64 v[1:2], 3, v[1:2]
	v_mov_b32_e32 v7, s9
	v_add_co_u32_e32 v1, vcc, s8, v1
	v_addc_co_u32_e32 v2, vcc, v7, v2, vcc
	v_mad_i64_i32 v[3:4], s[12:13], v0, s6, 0
	global_load_dwordx2 v[7:8], v[1:2], off
	v_lshlrev_b64 v[1:2], 3, v[5:6]
	v_mov_b32_e32 v5, s10
	v_add_co_u32_e32 v1, vcc, s7, v1
	v_addc_co_u32_e32 v2, vcc, v5, v2, vcc
	global_load_dwordx2 v[5:6], v[1:2], off
	v_lshlrev_b64 v[2:3], 3, v[3:4]
	v_ashrrev_i32_e32 v1, 31, v0
	v_mov_b32_e32 v4, s15
	v_add_co_u32_e32 v2, vcc, s14, v2
	v_lshlrev_b64 v[0:1], 3, v[0:1]
	v_addc_co_u32_e32 v3, vcc, v4, v3, vcc
	v_add_co_u32_e32 v0, vcc, v2, v0
	v_addc_co_u32_e32 v1, vcc, v3, v1, vcc
	global_load_dword v2, v[0:1], off
	s_waitcnt vmcnt(2)
	v_mul_f32_e32 v4, s16, v8
	v_mul_f32_e32 v3, s17, v8
	v_fmac_f32_e32 v4, s17, v7
	v_fma_f32 v3, s16, v7, -v3
	s_waitcnt vmcnt(1)
	v_mul_f32_e32 v9, s17, v6
	v_mul_f32_e32 v10, s17, v5
	v_fmac_f32_e32 v9, s16, v5
	v_fma_f32 v10, s16, v6, -v10
	v_mul_f32_e32 v11, v6, v4
	v_mul_f32_e32 v6, v6, v3
	;; [unrolled: 1-line block ×4, first 2 shown]
	v_fmac_f32_e32 v11, v5, v3
	v_fma_f32 v3, v5, v4, -v6
	v_fmac_f32_e32 v12, v7, v9
	v_fma_f32 v4, v7, v10, -v8
	v_add_f32_e32 v3, v3, v4
	s_waitcnt vmcnt(0)
	v_add_f32_e32 v2, v2, v11
	v_add_f32_e32 v2, v2, v12
	global_store_dwordx2 v[0:1], v[2:3], off
.LBB1_5:
	s_or_b64 exec, exec, s[2:3]
                                        ; implicit-def: $vgpr0
                                        ; implicit-def: $vgpr2
.LBB1_6:
	s_andn2_saveexec_b64 s[0:1], s[0:1]
	s_cbranch_execz .LBB1_8
; %bb.7:
	s_waitcnt lgkmcnt(0)
	v_mad_i64_i32 v[3:4], s[0:1], v0, s4, 0
	v_mad_i64_i32 v[5:6], s[0:1], v2, s11, 0
	v_lshlrev_b64 v[3:4], 3, v[3:4]
	v_mov_b32_e32 v7, s9
	v_add_co_u32_e32 v3, vcc, s8, v3
	v_addc_co_u32_e32 v4, vcc, v7, v4, vcc
	v_mad_i64_i32 v[7:8], s[0:1], v0, s11, 0
	v_lshlrev_b64 v[5:6], 3, v[5:6]
	v_mov_b32_e32 v9, s10
	v_add_co_u32_e32 v5, vcc, s7, v5
	v_lshlrev_b64 v[7:8], 3, v[7:8]
	v_addc_co_u32_e32 v6, vcc, v9, v6, vcc
	v_mov_b32_e32 v11, s10
	v_mad_i64_i32 v[9:10], s[0:1], v2, s4, 0
	v_add_co_u32_e32 v7, vcc, s7, v7
	v_addc_co_u32_e32 v8, vcc, v11, v8, vcc
	global_load_dwordx2 v[3:4], v[3:4], off
	s_nop 0
	global_load_dwordx2 v[11:12], v[5:6], off
	global_load_dwordx2 v[13:14], v[7:8], off
	v_mad_i64_i32 v[7:8], s[0:1], v2, s6, 0
	v_lshlrev_b64 v[5:6], 3, v[9:10]
	v_mov_b32_e32 v9, s9
	v_add_co_u32_e32 v5, vcc, s8, v5
	v_lshlrev_b64 v[7:8], 3, v[7:8]
	v_ashrrev_i32_e32 v1, 31, v0
	v_addc_co_u32_e32 v6, vcc, v9, v6, vcc
	v_mov_b32_e32 v2, s15
	v_add_co_u32_e32 v7, vcc, s14, v7
	v_lshlrev_b64 v[0:1], 3, v[0:1]
	global_load_dwordx2 v[5:6], v[5:6], off
	v_addc_co_u32_e32 v2, vcc, v2, v8, vcc
	v_add_co_u32_e32 v0, vcc, v7, v0
	v_addc_co_u32_e32 v1, vcc, v2, v1, vcc
	global_load_dwordx2 v[7:8], v[0:1], off
	s_waitcnt vmcnt(4)
	v_mul_f32_e32 v2, s17, v4
	v_mul_f32_e32 v4, s16, v4
	s_waitcnt vmcnt(2)
	v_mul_f32_e32 v9, s17, v14
	v_mul_f32_e32 v10, s17, v13
	v_fma_f32 v2, s16, v3, -v2
	v_fmac_f32_e32 v4, s17, v3
	v_fmac_f32_e32 v9, s16, v13
	v_fma_f32 v3, s16, v14, -v10
	v_mul_f32_e32 v10, v12, v4
	v_mul_f32_e32 v12, v12, v2
	v_fmac_f32_e32 v10, v11, v2
	v_fma_f32 v2, v11, v4, -v12
	s_waitcnt vmcnt(1)
	v_mul_f32_e32 v13, v6, v3
	v_mul_f32_e32 v6, v6, v9
	v_fmac_f32_e32 v13, v5, v9
	v_fma_f32 v3, v5, v3, -v6
	v_add_f32_e32 v4, v10, v13
	v_add_f32_e32 v3, v2, v3
	s_waitcnt vmcnt(0)
	v_add_f32_e32 v2, v7, v4
	v_add_f32_e32 v3, v8, v3
	global_store_dwordx2 v[0:1], v[2:3], off
.LBB1_8:
	s_endpgm
	.section	.rodata,"a",@progbits
	.p2align	6, 0x0
	.amdhsa_kernel _ZL19rocblas_her2_kernelIiLi512E19rocblas_complex_numIfEPKS1_PS1_EvbimT1_T2_lT_lS6_lS7_lT3_lS7_li
		.amdhsa_group_segment_fixed_size 0
		.amdhsa_private_segment_fixed_size 0
		.amdhsa_kernarg_size 384
		.amdhsa_user_sgpr_count 6
		.amdhsa_user_sgpr_private_segment_buffer 1
		.amdhsa_user_sgpr_dispatch_ptr 0
		.amdhsa_user_sgpr_queue_ptr 0
		.amdhsa_user_sgpr_kernarg_segment_ptr 1
		.amdhsa_user_sgpr_dispatch_id 0
		.amdhsa_user_sgpr_flat_scratch_init 0
		.amdhsa_user_sgpr_private_segment_size 0
		.amdhsa_uses_dynamic_stack 0
		.amdhsa_system_sgpr_private_segment_wavefront_offset 0
		.amdhsa_system_sgpr_workgroup_id_x 1
		.amdhsa_system_sgpr_workgroup_id_y 0
		.amdhsa_system_sgpr_workgroup_id_z 1
		.amdhsa_system_sgpr_workgroup_info 0
		.amdhsa_system_vgpr_workitem_id 0
		.amdhsa_next_free_vgpr 15
		.amdhsa_next_free_sgpr 29
		.amdhsa_reserve_vcc 1
		.amdhsa_reserve_flat_scratch 0
		.amdhsa_float_round_mode_32 0
		.amdhsa_float_round_mode_16_64 0
		.amdhsa_float_denorm_mode_32 3
		.amdhsa_float_denorm_mode_16_64 3
		.amdhsa_dx10_clamp 1
		.amdhsa_ieee_mode 1
		.amdhsa_fp16_overflow 0
		.amdhsa_exception_fp_ieee_invalid_op 0
		.amdhsa_exception_fp_denorm_src 0
		.amdhsa_exception_fp_ieee_div_zero 0
		.amdhsa_exception_fp_ieee_overflow 0
		.amdhsa_exception_fp_ieee_underflow 0
		.amdhsa_exception_fp_ieee_inexact 0
		.amdhsa_exception_int_div_zero 0
	.end_amdhsa_kernel
	.section	.text._ZL19rocblas_her2_kernelIiLi512E19rocblas_complex_numIfEPKS1_PS1_EvbimT1_T2_lT_lS6_lS7_lT3_lS7_li,"axG",@progbits,_ZL19rocblas_her2_kernelIiLi512E19rocblas_complex_numIfEPKS1_PS1_EvbimT1_T2_lT_lS6_lS7_lT3_lS7_li,comdat
.Lfunc_end1:
	.size	_ZL19rocblas_her2_kernelIiLi512E19rocblas_complex_numIfEPKS1_PS1_EvbimT1_T2_lT_lS6_lS7_lT3_lS7_li, .Lfunc_end1-_ZL19rocblas_her2_kernelIiLi512E19rocblas_complex_numIfEPKS1_PS1_EvbimT1_T2_lT_lS6_lS7_lT3_lS7_li
                                        ; -- End function
	.set _ZL19rocblas_her2_kernelIiLi512E19rocblas_complex_numIfEPKS1_PS1_EvbimT1_T2_lT_lS6_lS7_lT3_lS7_li.num_vgpr, 15
	.set _ZL19rocblas_her2_kernelIiLi512E19rocblas_complex_numIfEPKS1_PS1_EvbimT1_T2_lT_lS6_lS7_lT3_lS7_li.num_agpr, 0
	.set _ZL19rocblas_her2_kernelIiLi512E19rocblas_complex_numIfEPKS1_PS1_EvbimT1_T2_lT_lS6_lS7_lT3_lS7_li.numbered_sgpr, 29
	.set _ZL19rocblas_her2_kernelIiLi512E19rocblas_complex_numIfEPKS1_PS1_EvbimT1_T2_lT_lS6_lS7_lT3_lS7_li.num_named_barrier, 0
	.set _ZL19rocblas_her2_kernelIiLi512E19rocblas_complex_numIfEPKS1_PS1_EvbimT1_T2_lT_lS6_lS7_lT3_lS7_li.private_seg_size, 0
	.set _ZL19rocblas_her2_kernelIiLi512E19rocblas_complex_numIfEPKS1_PS1_EvbimT1_T2_lT_lS6_lS7_lT3_lS7_li.uses_vcc, 1
	.set _ZL19rocblas_her2_kernelIiLi512E19rocblas_complex_numIfEPKS1_PS1_EvbimT1_T2_lT_lS6_lS7_lT3_lS7_li.uses_flat_scratch, 0
	.set _ZL19rocblas_her2_kernelIiLi512E19rocblas_complex_numIfEPKS1_PS1_EvbimT1_T2_lT_lS6_lS7_lT3_lS7_li.has_dyn_sized_stack, 0
	.set _ZL19rocblas_her2_kernelIiLi512E19rocblas_complex_numIfEPKS1_PS1_EvbimT1_T2_lT_lS6_lS7_lT3_lS7_li.has_recursion, 0
	.set _ZL19rocblas_her2_kernelIiLi512E19rocblas_complex_numIfEPKS1_PS1_EvbimT1_T2_lT_lS6_lS7_lT3_lS7_li.has_indirect_call, 0
	.section	.AMDGPU.csdata,"",@progbits
; Kernel info:
; codeLenInByte = 1228
; TotalNumSgprs: 33
; NumVgprs: 15
; ScratchSize: 0
; MemoryBound: 0
; FloatMode: 240
; IeeeMode: 1
; LDSByteSize: 0 bytes/workgroup (compile time only)
; SGPRBlocks: 4
; VGPRBlocks: 3
; NumSGPRsForWavesPerEU: 33
; NumVGPRsForWavesPerEU: 15
; Occupancy: 10
; WaveLimiterHint : 1
; COMPUTE_PGM_RSRC2:SCRATCH_EN: 0
; COMPUTE_PGM_RSRC2:USER_SGPR: 6
; COMPUTE_PGM_RSRC2:TRAP_HANDLER: 0
; COMPUTE_PGM_RSRC2:TGID_X_EN: 1
; COMPUTE_PGM_RSRC2:TGID_Y_EN: 0
; COMPUTE_PGM_RSRC2:TGID_Z_EN: 1
; COMPUTE_PGM_RSRC2:TIDIG_COMP_CNT: 0
	.section	.text._ZL19rocblas_her2_kernelIiLi512EPK19rocblas_complex_numIdES3_PS1_EvbimT1_T2_lT_lS6_lS7_lT3_lS7_li,"axG",@progbits,_ZL19rocblas_her2_kernelIiLi512EPK19rocblas_complex_numIdES3_PS1_EvbimT1_T2_lT_lS6_lS7_lT3_lS7_li,comdat
	.globl	_ZL19rocblas_her2_kernelIiLi512EPK19rocblas_complex_numIdES3_PS1_EvbimT1_T2_lT_lS6_lS7_lT3_lS7_li ; -- Begin function _ZL19rocblas_her2_kernelIiLi512EPK19rocblas_complex_numIdES3_PS1_EvbimT1_T2_lT_lS6_lS7_lT3_lS7_li
	.p2align	8
	.type	_ZL19rocblas_her2_kernelIiLi512EPK19rocblas_complex_numIdES3_PS1_EvbimT1_T2_lT_lS6_lS7_lT3_lS7_li,@function
_ZL19rocblas_her2_kernelIiLi512EPK19rocblas_complex_numIdES3_PS1_EvbimT1_T2_lT_lS6_lS7_lT3_lS7_li: ; @_ZL19rocblas_her2_kernelIiLi512EPK19rocblas_complex_numIdES3_PS1_EvbimT1_T2_lT_lS6_lS7_lT3_lS7_li
; %bb.0:
	s_load_dwordx8 s[8:15], s[4:5], 0x8
	s_waitcnt lgkmcnt(0)
	s_load_dwordx4 s[16:19], s[10:11], 0x0
	s_waitcnt lgkmcnt(0)
	v_cmp_neq_f64_e64 s[0:1], s[16:17], 0
	v_cmp_neq_f64_e64 s[2:3], s[18:19], 0
	s_or_b64 s[0:1], s[0:1], s[2:3]
	s_andn2_b64 vcc, exec, s[0:1]
	s_cbranch_vccnz .LBB2_8
; %bb.1:
	s_load_dword s0, s[4:5], 0x8c
	v_mov_b32_e32 v1, 0
	v_mov_b32_e32 v2, s6
	s_waitcnt lgkmcnt(0)
	s_and_b32 s0, s0, 0xffff
	v_mad_u64_u32 v[0:1], s[0:1], s0, v2, v[0:1]
	v_cmp_gt_u64_e32 vcc, s[8:9], v[0:1]
	s_and_saveexec_b64 s[0:1], vcc
	s_cbranch_execz .LBB2_8
; %bb.2:
	s_load_dwordx2 s[10:11], s[4:5], 0x0
	s_load_dword s6, s[4:5], 0x28
	s_load_dwordx2 s[26:27], s[4:5], 0x70
	s_load_dwordx4 s[0:3], s[4:5], 0x30
	s_load_dwordx2 s[28:29], s[4:5], 0x40
	s_load_dwordx4 s[20:23], s[4:5], 0x50
	s_load_dwordx2 s[30:31], s[4:5], 0x60
	s_load_dword s24, s[4:5], 0x68
	s_waitcnt lgkmcnt(0)
	s_mul_i32 s25, s27, s7
	s_mul_hi_u32 s27, s26, s7
	s_add_i32 s27, s27, s25
	s_mul_i32 s26, s26, s7
	s_lshl_b64 s[26:27], s[26:27], 4
	s_add_u32 s22, s22, s26
	s_load_dword s25, s[4:5], 0x48
	s_addc_u32 s23, s23, s27
	s_lshl_b64 s[4:5], s[30:31], 4
	s_add_u32 s4, s22, s4
	s_mul_i32 s1, s1, s7
	s_mul_hi_u32 s22, s0, s7
	s_addc_u32 s5, s23, s5
	s_add_i32 s1, s22, s1
	s_mul_i32 s0, s0, s7
	s_lshl_b64 s[0:1], s[0:1], 4
	s_add_u32 s12, s12, s0
	s_addc_u32 s13, s13, s1
	s_lshl_b64 s[0:1], s[14:15], 4
	s_add_u32 s12, s12, s0
	s_addc_u32 s13, s13, s1
	s_mul_i32 s0, s21, s7
	s_mul_hi_u32 s1, s20, s7
	s_add_i32 s1, s1, s0
	s_mul_i32 s0, s20, s7
	s_lshl_b64 s[0:1], s[0:1], 4
	s_add_u32 s2, s2, s0
	s_addc_u32 s3, s3, s1
	s_lshl_b64 s[0:1], s[28:29], 4
	s_add_u32 s7, s2, s0
	v_not_b32_e32 v3, v0
	s_addc_u32 s14, s3, s1
	v_not_b32_e32 v2, v1
	v_mov_b32_e32 v4, s9
	v_add_co_u32_e32 v3, vcc, s8, v3
	s_bitcmp1_b32 s10, 0
	v_addc_co_u32_e32 v2, vcc, v4, v2, vcc
	s_cselect_b64 vcc, -1, 0
	v_cndmask_b32_e32 v1, v2, v1, vcc
	v_cndmask_b32_e32 v0, v3, v0, vcc
	v_lshlrev_b64 v[1:2], 3, v[0:1]
	s_mov_b32 s0, 0
	v_cvt_f64_u32_e32 v[2:3], v2
	v_or_b32_e32 v1, 1, v1
	v_cvt_f64_u32_e32 v[4:5], v1
	s_brev_b32 s1, 8
	v_ldexp_f64 v[2:3], v[2:3], 32
	v_add_f64 v[1:2], v[2:3], v[4:5]
	v_mov_b32_e32 v3, 0x100
	v_cmp_gt_f64_e64 s[0:1], s[0:1], v[1:2]
	v_cndmask_b32_e64 v3, 0, v3, s[0:1]
	v_ldexp_f64 v[1:2], v[1:2], v3
	v_rsq_f64_e32 v[3:4], v[1:2]
	v_mul_f64 v[5:6], v[1:2], v[3:4]
	v_mul_f64 v[3:4], v[3:4], 0.5
	v_fma_f64 v[7:8], -v[3:4], v[5:6], 0.5
	v_fma_f64 v[5:6], v[5:6], v[7:8], v[5:6]
	v_fma_f64 v[3:4], v[3:4], v[7:8], v[3:4]
	v_fma_f64 v[7:8], -v[5:6], v[5:6], v[1:2]
	v_fma_f64 v[5:6], v[7:8], v[3:4], v[5:6]
	v_fma_f64 v[7:8], -v[5:6], v[5:6], v[1:2]
	v_fma_f64 v[3:4], v[7:8], v[3:4], v[5:6]
	v_mov_b32_e32 v5, 0xffffff80
	v_mov_b32_e32 v6, 0x260
	v_cndmask_b32_e64 v5, 0, v5, s[0:1]
	v_cmp_class_f64_e64 s[0:1], v[1:2], v6
	v_ldexp_f64 v[3:4], v[3:4], v5
	v_cndmask_b32_e64 v2, v4, v2, s[0:1]
	v_cndmask_b32_e64 v1, v3, v1, s[0:1]
	v_add_f64 v[1:2], v[1:2], -1.0
	v_cvt_i32_f64_e32 v1, v[1:2]
	v_lshrrev_b32_e32 v2, 31, v1
	v_add_u32_e32 v1, v1, v2
	v_ashrrev_i32_e32 v4, 1, v1
	v_add_u32_e32 v1, 1, v4
	v_mad_i64_i32 v[2:3], s[0:1], v1, v4, 0
	s_add_i32 s0, s11, -1
	v_sub_u32_e32 v1, s0, v4
	v_alignbit_b32 v2, v3, v2, 1
	v_sub_u32_e32 v2, v0, v2
	v_sub_u32_e32 v0, s0, v2
	v_cndmask_b32_e32 v1, v1, v4, vcc
	v_cndmask_b32_e32 v0, v0, v2, vcc
	v_cmp_le_i32_e32 vcc, v4, v2
	s_and_saveexec_b64 s[0:1], vcc
	s_xor_b64 s[0:1], exec, s[0:1]
	s_cbranch_execz .LBB2_6
; %bb.3:
	v_cmp_eq_u32_e32 vcc, v0, v1
	s_and_saveexec_b64 s[2:3], vcc
	s_cbranch_execz .LBB2_5
; %bb.4:
	v_mad_i64_i32 v[1:2], s[8:9], v0, s6, 0
	v_mov_b32_e32 v3, s13
	s_waitcnt lgkmcnt(0)
	v_mad_i64_i32 v[6:7], s[8:9], v0, s25, 0
	v_lshlrev_b64 v[1:2], 4, v[1:2]
	v_mad_i64_i32 v[10:11], s[8:9], v0, s24, 0
	v_add_co_u32_e32 v1, vcc, s12, v1
	v_addc_co_u32_e32 v2, vcc, v3, v2, vcc
	global_load_dwordx4 v[2:5], v[1:2], off
	v_lshlrev_b64 v[6:7], 4, v[6:7]
	v_mov_b32_e32 v1, s14
	v_add_co_u32_e32 v6, vcc, s7, v6
	v_addc_co_u32_e32 v7, vcc, v1, v7, vcc
	global_load_dwordx4 v[6:9], v[6:7], off
	v_lshlrev_b64 v[10:11], 4, v[10:11]
	v_ashrrev_i32_e32 v1, 31, v0
	v_mov_b32_e32 v12, s5
	v_lshlrev_b64 v[0:1], 4, v[0:1]
	v_add_co_u32_e32 v10, vcc, s4, v10
	v_addc_co_u32_e32 v11, vcc, v12, v11, vcc
	v_add_co_u32_e32 v10, vcc, v10, v0
	v_addc_co_u32_e32 v11, vcc, v11, v1, vcc
	global_load_dwordx2 v[0:1], v[10:11], off
	s_waitcnt vmcnt(2)
	v_mul_f64 v[12:13], s[16:17], v[4:5]
	v_mul_f64 v[14:15], s[18:19], v[4:5]
	v_fma_f64 v[12:13], s[18:19], v[2:3], v[12:13]
	v_fma_f64 v[14:15], s[16:17], v[2:3], -v[14:15]
	s_waitcnt vmcnt(1)
	v_mul_f64 v[16:17], v[8:9], v[12:13]
	v_mul_f64 v[18:19], v[8:9], v[14:15]
	v_fma_f64 v[14:15], v[6:7], v[14:15], v[16:17]
	v_mul_f64 v[16:17], s[18:19], v[6:7]
	v_fma_f64 v[12:13], v[6:7], v[12:13], -v[18:19]
	v_mul_f64 v[18:19], s[18:19], v[8:9]
	s_waitcnt vmcnt(0)
	v_add_f64 v[0:1], v[0:1], v[14:15]
	v_fma_f64 v[8:9], s[16:17], v[8:9], -v[16:17]
	v_fma_f64 v[6:7], s[16:17], v[6:7], v[18:19]
	v_mul_f64 v[16:17], v[4:5], v[8:9]
	v_mul_f64 v[4:5], v[4:5], v[6:7]
	v_fma_f64 v[6:7], v[2:3], v[6:7], v[16:17]
	v_fma_f64 v[2:3], v[2:3], v[8:9], -v[4:5]
	v_add_f64 v[0:1], v[0:1], v[6:7]
	v_add_f64 v[2:3], v[12:13], v[2:3]
	global_store_dwordx4 v[10:11], v[0:3], off
.LBB2_5:
	s_or_b64 exec, exec, s[2:3]
                                        ; implicit-def: $vgpr0
                                        ; implicit-def: $vgpr1
.LBB2_6:
	s_andn2_saveexec_b64 s[0:1], s[0:1]
	s_cbranch_execz .LBB2_8
; %bb.7:
	v_mad_i64_i32 v[2:3], s[0:1], v0, s6, 0
	v_mov_b32_e32 v4, s13
	s_waitcnt lgkmcnt(0)
	v_mad_i64_i32 v[6:7], s[0:1], v0, s25, 0
	v_lshlrev_b64 v[2:3], 4, v[2:3]
	v_mov_b32_e32 v8, s14
	v_add_co_u32_e32 v2, vcc, s12, v2
	v_addc_co_u32_e32 v3, vcc, v4, v3, vcc
	global_load_dwordx4 v[2:5], v[2:3], off
	v_lshlrev_b64 v[6:7], 4, v[6:7]
	v_mad_i64_i32 v[10:11], s[0:1], v1, s25, 0
	v_add_co_u32_e32 v6, vcc, s7, v6
	v_addc_co_u32_e32 v7, vcc, v8, v7, vcc
	global_load_dwordx4 v[6:9], v[6:7], off
	v_lshlrev_b64 v[10:11], 4, v[10:11]
	v_mov_b32_e32 v12, s14
	v_add_co_u32_e32 v10, vcc, s7, v10
	v_addc_co_u32_e32 v11, vcc, v12, v11, vcc
	global_load_dwordx4 v[10:13], v[10:11], off
	v_mad_i64_i32 v[14:15], s[0:1], v1, s6, 0
	v_mov_b32_e32 v16, s13
	v_mov_b32_e32 v18, s5
	v_lshlrev_b64 v[14:15], 4, v[14:15]
	v_add_co_u32_e32 v14, vcc, s12, v14
	v_addc_co_u32_e32 v15, vcc, v16, v15, vcc
	v_mad_i64_i32 v[16:17], s[0:1], v1, s24, 0
	v_ashrrev_i32_e32 v1, 31, v0
	v_lshlrev_b64 v[0:1], 4, v[0:1]
	v_lshlrev_b64 v[16:17], 4, v[16:17]
	v_add_co_u32_e32 v16, vcc, s4, v16
	v_addc_co_u32_e32 v17, vcc, v18, v17, vcc
	v_add_co_u32_e32 v16, vcc, v16, v0
	v_addc_co_u32_e32 v17, vcc, v17, v1, vcc
	s_waitcnt vmcnt(2)
	v_mul_f64 v[0:1], s[18:19], v[4:5]
	v_mul_f64 v[4:5], s[16:17], v[4:5]
	v_fma_f64 v[18:19], s[16:17], v[2:3], -v[0:1]
	v_fma_f64 v[4:5], s[18:19], v[2:3], v[4:5]
	s_waitcnt vmcnt(1)
	v_mul_f64 v[0:1], s[18:19], v[8:9]
	v_mul_f64 v[2:3], s[18:19], v[6:7]
	v_fma_f64 v[20:21], s[16:17], v[6:7], v[0:1]
	v_fma_f64 v[8:9], s[16:17], v[8:9], -v[2:3]
	global_load_dwordx4 v[0:3], v[14:15], off
	s_waitcnt vmcnt(1)
	v_mul_f64 v[6:7], v[12:13], v[4:5]
	v_fma_f64 v[14:15], v[10:11], v[18:19], v[6:7]
	v_mul_f64 v[6:7], v[12:13], v[18:19]
	v_fma_f64 v[10:11], v[10:11], v[4:5], -v[6:7]
	global_load_dwordx4 v[4:7], v[16:17], off
	s_waitcnt vmcnt(1)
	v_mul_f64 v[12:13], v[2:3], v[8:9]
	v_mul_f64 v[2:3], v[2:3], v[20:21]
	v_fma_f64 v[12:13], v[0:1], v[20:21], v[12:13]
	v_fma_f64 v[0:1], v[0:1], v[8:9], -v[2:3]
	v_add_f64 v[2:3], v[14:15], v[12:13]
	v_add_f64 v[8:9], v[10:11], v[0:1]
	s_waitcnt vmcnt(0)
	v_add_f64 v[0:1], v[4:5], v[2:3]
	v_add_f64 v[2:3], v[6:7], v[8:9]
	global_store_dwordx4 v[16:17], v[0:3], off
.LBB2_8:
	s_endpgm
	.section	.rodata,"a",@progbits
	.p2align	6, 0x0
	.amdhsa_kernel _ZL19rocblas_her2_kernelIiLi512EPK19rocblas_complex_numIdES3_PS1_EvbimT1_T2_lT_lS6_lS7_lT3_lS7_li
		.amdhsa_group_segment_fixed_size 0
		.amdhsa_private_segment_fixed_size 0
		.amdhsa_kernarg_size 384
		.amdhsa_user_sgpr_count 6
		.amdhsa_user_sgpr_private_segment_buffer 1
		.amdhsa_user_sgpr_dispatch_ptr 0
		.amdhsa_user_sgpr_queue_ptr 0
		.amdhsa_user_sgpr_kernarg_segment_ptr 1
		.amdhsa_user_sgpr_dispatch_id 0
		.amdhsa_user_sgpr_flat_scratch_init 0
		.amdhsa_user_sgpr_private_segment_size 0
		.amdhsa_uses_dynamic_stack 0
		.amdhsa_system_sgpr_private_segment_wavefront_offset 0
		.amdhsa_system_sgpr_workgroup_id_x 1
		.amdhsa_system_sgpr_workgroup_id_y 0
		.amdhsa_system_sgpr_workgroup_id_z 1
		.amdhsa_system_sgpr_workgroup_info 0
		.amdhsa_system_vgpr_workitem_id 0
		.amdhsa_next_free_vgpr 22
		.amdhsa_next_free_sgpr 32
		.amdhsa_reserve_vcc 1
		.amdhsa_reserve_flat_scratch 0
		.amdhsa_float_round_mode_32 0
		.amdhsa_float_round_mode_16_64 0
		.amdhsa_float_denorm_mode_32 3
		.amdhsa_float_denorm_mode_16_64 3
		.amdhsa_dx10_clamp 1
		.amdhsa_ieee_mode 1
		.amdhsa_fp16_overflow 0
		.amdhsa_exception_fp_ieee_invalid_op 0
		.amdhsa_exception_fp_denorm_src 0
		.amdhsa_exception_fp_ieee_div_zero 0
		.amdhsa_exception_fp_ieee_overflow 0
		.amdhsa_exception_fp_ieee_underflow 0
		.amdhsa_exception_fp_ieee_inexact 0
		.amdhsa_exception_int_div_zero 0
	.end_amdhsa_kernel
	.section	.text._ZL19rocblas_her2_kernelIiLi512EPK19rocblas_complex_numIdES3_PS1_EvbimT1_T2_lT_lS6_lS7_lT3_lS7_li,"axG",@progbits,_ZL19rocblas_her2_kernelIiLi512EPK19rocblas_complex_numIdES3_PS1_EvbimT1_T2_lT_lS6_lS7_lT3_lS7_li,comdat
.Lfunc_end2:
	.size	_ZL19rocblas_her2_kernelIiLi512EPK19rocblas_complex_numIdES3_PS1_EvbimT1_T2_lT_lS6_lS7_lT3_lS7_li, .Lfunc_end2-_ZL19rocblas_her2_kernelIiLi512EPK19rocblas_complex_numIdES3_PS1_EvbimT1_T2_lT_lS6_lS7_lT3_lS7_li
                                        ; -- End function
	.set _ZL19rocblas_her2_kernelIiLi512EPK19rocblas_complex_numIdES3_PS1_EvbimT1_T2_lT_lS6_lS7_lT3_lS7_li.num_vgpr, 22
	.set _ZL19rocblas_her2_kernelIiLi512EPK19rocblas_complex_numIdES3_PS1_EvbimT1_T2_lT_lS6_lS7_lT3_lS7_li.num_agpr, 0
	.set _ZL19rocblas_her2_kernelIiLi512EPK19rocblas_complex_numIdES3_PS1_EvbimT1_T2_lT_lS6_lS7_lT3_lS7_li.numbered_sgpr, 32
	.set _ZL19rocblas_her2_kernelIiLi512EPK19rocblas_complex_numIdES3_PS1_EvbimT1_T2_lT_lS6_lS7_lT3_lS7_li.num_named_barrier, 0
	.set _ZL19rocblas_her2_kernelIiLi512EPK19rocblas_complex_numIdES3_PS1_EvbimT1_T2_lT_lS6_lS7_lT3_lS7_li.private_seg_size, 0
	.set _ZL19rocblas_her2_kernelIiLi512EPK19rocblas_complex_numIdES3_PS1_EvbimT1_T2_lT_lS6_lS7_lT3_lS7_li.uses_vcc, 1
	.set _ZL19rocblas_her2_kernelIiLi512EPK19rocblas_complex_numIdES3_PS1_EvbimT1_T2_lT_lS6_lS7_lT3_lS7_li.uses_flat_scratch, 0
	.set _ZL19rocblas_her2_kernelIiLi512EPK19rocblas_complex_numIdES3_PS1_EvbimT1_T2_lT_lS6_lS7_lT3_lS7_li.has_dyn_sized_stack, 0
	.set _ZL19rocblas_her2_kernelIiLi512EPK19rocblas_complex_numIdES3_PS1_EvbimT1_T2_lT_lS6_lS7_lT3_lS7_li.has_recursion, 0
	.set _ZL19rocblas_her2_kernelIiLi512EPK19rocblas_complex_numIdES3_PS1_EvbimT1_T2_lT_lS6_lS7_lT3_lS7_li.has_indirect_call, 0
	.section	.AMDGPU.csdata,"",@progbits
; Kernel info:
; codeLenInByte = 1348
; TotalNumSgprs: 36
; NumVgprs: 22
; ScratchSize: 0
; MemoryBound: 0
; FloatMode: 240
; IeeeMode: 1
; LDSByteSize: 0 bytes/workgroup (compile time only)
; SGPRBlocks: 4
; VGPRBlocks: 5
; NumSGPRsForWavesPerEU: 36
; NumVGPRsForWavesPerEU: 22
; Occupancy: 10
; WaveLimiterHint : 1
; COMPUTE_PGM_RSRC2:SCRATCH_EN: 0
; COMPUTE_PGM_RSRC2:USER_SGPR: 6
; COMPUTE_PGM_RSRC2:TRAP_HANDLER: 0
; COMPUTE_PGM_RSRC2:TGID_X_EN: 1
; COMPUTE_PGM_RSRC2:TGID_Y_EN: 0
; COMPUTE_PGM_RSRC2:TGID_Z_EN: 1
; COMPUTE_PGM_RSRC2:TIDIG_COMP_CNT: 0
	.section	.text._ZL19rocblas_her2_kernelIiLi512E19rocblas_complex_numIdEPKS1_PS1_EvbimT1_T2_lT_lS6_lS7_lT3_lS7_li,"axG",@progbits,_ZL19rocblas_her2_kernelIiLi512E19rocblas_complex_numIdEPKS1_PS1_EvbimT1_T2_lT_lS6_lS7_lT3_lS7_li,comdat
	.globl	_ZL19rocblas_her2_kernelIiLi512E19rocblas_complex_numIdEPKS1_PS1_EvbimT1_T2_lT_lS6_lS7_lT3_lS7_li ; -- Begin function _ZL19rocblas_her2_kernelIiLi512E19rocblas_complex_numIdEPKS1_PS1_EvbimT1_T2_lT_lS6_lS7_lT3_lS7_li
	.p2align	8
	.type	_ZL19rocblas_her2_kernelIiLi512E19rocblas_complex_numIdEPKS1_PS1_EvbimT1_T2_lT_lS6_lS7_lT3_lS7_li,@function
_ZL19rocblas_her2_kernelIiLi512E19rocblas_complex_numIdEPKS1_PS1_EvbimT1_T2_lT_lS6_lS7_lT3_lS7_li: ; @_ZL19rocblas_her2_kernelIiLi512E19rocblas_complex_numIdEPKS1_PS1_EvbimT1_T2_lT_lS6_lS7_lT3_lS7_li
; %bb.0:
	s_load_dwordx8 s[8:15], s[4:5], 0x8
	s_waitcnt lgkmcnt(0)
	v_cmp_neq_f64_e64 s[0:1], s[10:11], 0
	v_cmp_neq_f64_e64 s[2:3], s[12:13], 0
	s_or_b64 s[0:1], s[0:1], s[2:3]
	s_andn2_b64 vcc, exec, s[0:1]
	s_cbranch_vccnz .LBB3_8
; %bb.1:
	s_load_dword s0, s[4:5], 0x94
	s_load_dwordx2 s[22:23], s[4:5], 0x28
	v_mov_b32_e32 v1, 0
	v_mov_b32_e32 v2, s6
	s_waitcnt lgkmcnt(0)
	s_and_b32 s0, s0, 0xffff
	v_mad_u64_u32 v[0:1], s[0:1], s0, v2, v[0:1]
	v_cmp_gt_u64_e32 vcc, s[8:9], v[0:1]
	s_and_saveexec_b64 s[0:1], vcc
	s_cbranch_execz .LBB3_8
; %bb.2:
	s_load_dwordx2 s[20:21], s[4:5], 0x0
	s_load_dword s6, s[4:5], 0x30
	s_load_dwordx2 s[26:27], s[4:5], 0x78
	s_load_dwordx4 s[0:3], s[4:5], 0x38
	s_load_dwordx2 s[28:29], s[4:5], 0x48
	s_load_dwordx4 s[16:19], s[4:5], 0x58
	s_load_dwordx2 s[30:31], s[4:5], 0x68
	s_load_dword s24, s[4:5], 0x70
	s_waitcnt lgkmcnt(0)
	s_mul_i32 s25, s27, s7
	s_mul_hi_u32 s27, s26, s7
	s_add_i32 s27, s27, s25
	s_mul_i32 s26, s26, s7
	s_lshl_b64 s[26:27], s[26:27], 4
	s_add_u32 s18, s18, s26
	s_load_dword s25, s[4:5], 0x50
	s_addc_u32 s19, s19, s27
	s_lshl_b64 s[4:5], s[30:31], 4
	s_add_u32 s4, s18, s4
	s_mul_i32 s1, s1, s7
	s_mul_hi_u32 s18, s0, s7
	s_addc_u32 s5, s19, s5
	s_add_i32 s1, s18, s1
	s_mul_i32 s0, s0, s7
	s_lshl_b64 s[0:1], s[0:1], 4
	s_add_u32 s14, s14, s0
	s_addc_u32 s15, s15, s1
	s_lshl_b64 s[0:1], s[22:23], 4
	s_add_u32 s14, s14, s0
	s_addc_u32 s15, s15, s1
	s_mul_i32 s0, s17, s7
	s_mul_hi_u32 s1, s16, s7
	s_add_i32 s1, s1, s0
	s_mul_i32 s0, s16, s7
	s_lshl_b64 s[0:1], s[0:1], 4
	s_add_u32 s2, s2, s0
	s_addc_u32 s3, s3, s1
	s_lshl_b64 s[0:1], s[28:29], 4
	s_add_u32 s7, s2, s0
	v_not_b32_e32 v3, v0
	s_addc_u32 s16, s3, s1
	v_not_b32_e32 v2, v1
	v_mov_b32_e32 v4, s9
	v_add_co_u32_e32 v3, vcc, s8, v3
	s_bitcmp1_b32 s20, 0
	v_addc_co_u32_e32 v2, vcc, v4, v2, vcc
	s_cselect_b64 vcc, -1, 0
	v_cndmask_b32_e32 v1, v2, v1, vcc
	v_cndmask_b32_e32 v0, v3, v0, vcc
	v_lshlrev_b64 v[1:2], 3, v[0:1]
	s_mov_b32 s0, 0
	v_cvt_f64_u32_e32 v[2:3], v2
	v_or_b32_e32 v1, 1, v1
	v_cvt_f64_u32_e32 v[4:5], v1
	s_brev_b32 s1, 8
	v_ldexp_f64 v[2:3], v[2:3], 32
	v_add_f64 v[1:2], v[2:3], v[4:5]
	v_mov_b32_e32 v3, 0x100
	v_cmp_gt_f64_e64 s[0:1], s[0:1], v[1:2]
	v_cndmask_b32_e64 v3, 0, v3, s[0:1]
	v_ldexp_f64 v[1:2], v[1:2], v3
	v_rsq_f64_e32 v[3:4], v[1:2]
	v_mul_f64 v[5:6], v[1:2], v[3:4]
	v_mul_f64 v[3:4], v[3:4], 0.5
	v_fma_f64 v[7:8], -v[3:4], v[5:6], 0.5
	v_fma_f64 v[5:6], v[5:6], v[7:8], v[5:6]
	v_fma_f64 v[3:4], v[3:4], v[7:8], v[3:4]
	v_fma_f64 v[7:8], -v[5:6], v[5:6], v[1:2]
	v_fma_f64 v[5:6], v[7:8], v[3:4], v[5:6]
	v_fma_f64 v[7:8], -v[5:6], v[5:6], v[1:2]
	v_fma_f64 v[3:4], v[7:8], v[3:4], v[5:6]
	v_mov_b32_e32 v5, 0xffffff80
	v_mov_b32_e32 v6, 0x260
	v_cndmask_b32_e64 v5, 0, v5, s[0:1]
	v_cmp_class_f64_e64 s[0:1], v[1:2], v6
	v_ldexp_f64 v[3:4], v[3:4], v5
	v_cndmask_b32_e64 v2, v4, v2, s[0:1]
	v_cndmask_b32_e64 v1, v3, v1, s[0:1]
	v_add_f64 v[1:2], v[1:2], -1.0
	v_cvt_i32_f64_e32 v1, v[1:2]
	v_lshrrev_b32_e32 v2, 31, v1
	v_add_u32_e32 v1, v1, v2
	v_ashrrev_i32_e32 v4, 1, v1
	v_add_u32_e32 v1, 1, v4
	v_mad_i64_i32 v[2:3], s[0:1], v1, v4, 0
	s_add_i32 s0, s21, -1
	v_sub_u32_e32 v1, s0, v4
	v_alignbit_b32 v2, v3, v2, 1
	v_sub_u32_e32 v2, v0, v2
	v_sub_u32_e32 v0, s0, v2
	v_cndmask_b32_e32 v1, v1, v4, vcc
	v_cndmask_b32_e32 v0, v0, v2, vcc
	v_cmp_le_i32_e32 vcc, v4, v2
	s_and_saveexec_b64 s[0:1], vcc
	s_xor_b64 s[0:1], exec, s[0:1]
	s_cbranch_execz .LBB3_6
; %bb.3:
	v_cmp_eq_u32_e32 vcc, v0, v1
	s_and_saveexec_b64 s[2:3], vcc
	s_cbranch_execz .LBB3_5
; %bb.4:
	v_mad_i64_i32 v[1:2], s[8:9], v0, s6, 0
	v_mov_b32_e32 v3, s15
	s_waitcnt lgkmcnt(0)
	v_mad_i64_i32 v[6:7], s[8:9], v0, s25, 0
	v_lshlrev_b64 v[1:2], 4, v[1:2]
	v_mad_i64_i32 v[10:11], s[8:9], v0, s24, 0
	v_add_co_u32_e32 v1, vcc, s14, v1
	v_addc_co_u32_e32 v2, vcc, v3, v2, vcc
	global_load_dwordx4 v[2:5], v[1:2], off
	v_lshlrev_b64 v[6:7], 4, v[6:7]
	v_mov_b32_e32 v1, s16
	v_add_co_u32_e32 v6, vcc, s7, v6
	v_addc_co_u32_e32 v7, vcc, v1, v7, vcc
	global_load_dwordx4 v[6:9], v[6:7], off
	v_lshlrev_b64 v[10:11], 4, v[10:11]
	v_ashrrev_i32_e32 v1, 31, v0
	v_mov_b32_e32 v12, s5
	v_lshlrev_b64 v[0:1], 4, v[0:1]
	v_add_co_u32_e32 v10, vcc, s4, v10
	v_addc_co_u32_e32 v11, vcc, v12, v11, vcc
	v_add_co_u32_e32 v10, vcc, v10, v0
	v_addc_co_u32_e32 v11, vcc, v11, v1, vcc
	global_load_dwordx2 v[0:1], v[10:11], off
	s_waitcnt vmcnt(2)
	v_mul_f64 v[12:13], s[10:11], v[4:5]
	v_mul_f64 v[14:15], s[12:13], v[4:5]
	v_fma_f64 v[12:13], s[12:13], v[2:3], v[12:13]
	v_fma_f64 v[14:15], s[10:11], v[2:3], -v[14:15]
	s_waitcnt vmcnt(1)
	v_mul_f64 v[16:17], v[8:9], v[12:13]
	v_mul_f64 v[18:19], v[8:9], v[14:15]
	v_fma_f64 v[14:15], v[6:7], v[14:15], v[16:17]
	v_mul_f64 v[16:17], s[12:13], v[6:7]
	v_fma_f64 v[12:13], v[6:7], v[12:13], -v[18:19]
	v_mul_f64 v[18:19], s[12:13], v[8:9]
	s_waitcnt vmcnt(0)
	v_add_f64 v[0:1], v[0:1], v[14:15]
	v_fma_f64 v[8:9], s[10:11], v[8:9], -v[16:17]
	v_fma_f64 v[6:7], s[10:11], v[6:7], v[18:19]
	v_mul_f64 v[16:17], v[4:5], v[8:9]
	v_mul_f64 v[4:5], v[4:5], v[6:7]
	v_fma_f64 v[6:7], v[2:3], v[6:7], v[16:17]
	v_fma_f64 v[2:3], v[2:3], v[8:9], -v[4:5]
	v_add_f64 v[0:1], v[0:1], v[6:7]
	v_add_f64 v[2:3], v[12:13], v[2:3]
	global_store_dwordx4 v[10:11], v[0:3], off
.LBB3_5:
	s_or_b64 exec, exec, s[2:3]
                                        ; implicit-def: $vgpr0
                                        ; implicit-def: $vgpr1
.LBB3_6:
	s_andn2_saveexec_b64 s[0:1], s[0:1]
	s_cbranch_execz .LBB3_8
; %bb.7:
	v_mad_i64_i32 v[2:3], s[0:1], v0, s6, 0
	v_mov_b32_e32 v4, s15
	s_waitcnt lgkmcnt(0)
	v_mad_i64_i32 v[6:7], s[0:1], v0, s25, 0
	v_lshlrev_b64 v[2:3], 4, v[2:3]
	v_mov_b32_e32 v8, s16
	v_add_co_u32_e32 v2, vcc, s14, v2
	v_addc_co_u32_e32 v3, vcc, v4, v3, vcc
	global_load_dwordx4 v[2:5], v[2:3], off
	v_lshlrev_b64 v[6:7], 4, v[6:7]
	v_mad_i64_i32 v[10:11], s[0:1], v1, s25, 0
	v_add_co_u32_e32 v6, vcc, s7, v6
	v_addc_co_u32_e32 v7, vcc, v8, v7, vcc
	global_load_dwordx4 v[6:9], v[6:7], off
	v_lshlrev_b64 v[10:11], 4, v[10:11]
	v_mov_b32_e32 v12, s16
	v_add_co_u32_e32 v10, vcc, s7, v10
	v_addc_co_u32_e32 v11, vcc, v12, v11, vcc
	global_load_dwordx4 v[10:13], v[10:11], off
	v_mad_i64_i32 v[14:15], s[0:1], v1, s6, 0
	v_mov_b32_e32 v16, s15
	v_mov_b32_e32 v18, s5
	v_lshlrev_b64 v[14:15], 4, v[14:15]
	v_add_co_u32_e32 v14, vcc, s14, v14
	v_addc_co_u32_e32 v15, vcc, v16, v15, vcc
	v_mad_i64_i32 v[16:17], s[0:1], v1, s24, 0
	v_ashrrev_i32_e32 v1, 31, v0
	v_lshlrev_b64 v[0:1], 4, v[0:1]
	v_lshlrev_b64 v[16:17], 4, v[16:17]
	v_add_co_u32_e32 v16, vcc, s4, v16
	v_addc_co_u32_e32 v17, vcc, v18, v17, vcc
	v_add_co_u32_e32 v16, vcc, v16, v0
	v_addc_co_u32_e32 v17, vcc, v17, v1, vcc
	s_waitcnt vmcnt(2)
	v_mul_f64 v[0:1], s[12:13], v[4:5]
	v_mul_f64 v[4:5], s[10:11], v[4:5]
	v_fma_f64 v[18:19], s[10:11], v[2:3], -v[0:1]
	v_fma_f64 v[4:5], s[12:13], v[2:3], v[4:5]
	s_waitcnt vmcnt(1)
	v_mul_f64 v[0:1], s[12:13], v[8:9]
	v_mul_f64 v[2:3], s[12:13], v[6:7]
	v_fma_f64 v[20:21], s[10:11], v[6:7], v[0:1]
	v_fma_f64 v[8:9], s[10:11], v[8:9], -v[2:3]
	global_load_dwordx4 v[0:3], v[14:15], off
	s_waitcnt vmcnt(1)
	v_mul_f64 v[6:7], v[12:13], v[4:5]
	v_fma_f64 v[14:15], v[10:11], v[18:19], v[6:7]
	v_mul_f64 v[6:7], v[12:13], v[18:19]
	v_fma_f64 v[10:11], v[10:11], v[4:5], -v[6:7]
	global_load_dwordx4 v[4:7], v[16:17], off
	s_waitcnt vmcnt(1)
	v_mul_f64 v[12:13], v[2:3], v[8:9]
	v_mul_f64 v[2:3], v[2:3], v[20:21]
	v_fma_f64 v[12:13], v[0:1], v[20:21], v[12:13]
	v_fma_f64 v[0:1], v[0:1], v[8:9], -v[2:3]
	v_add_f64 v[2:3], v[14:15], v[12:13]
	v_add_f64 v[8:9], v[10:11], v[0:1]
	s_waitcnt vmcnt(0)
	v_add_f64 v[0:1], v[4:5], v[2:3]
	v_add_f64 v[2:3], v[6:7], v[8:9]
	global_store_dwordx4 v[16:17], v[0:3], off
.LBB3_8:
	s_endpgm
	.section	.rodata,"a",@progbits
	.p2align	6, 0x0
	.amdhsa_kernel _ZL19rocblas_her2_kernelIiLi512E19rocblas_complex_numIdEPKS1_PS1_EvbimT1_T2_lT_lS6_lS7_lT3_lS7_li
		.amdhsa_group_segment_fixed_size 0
		.amdhsa_private_segment_fixed_size 0
		.amdhsa_kernarg_size 392
		.amdhsa_user_sgpr_count 6
		.amdhsa_user_sgpr_private_segment_buffer 1
		.amdhsa_user_sgpr_dispatch_ptr 0
		.amdhsa_user_sgpr_queue_ptr 0
		.amdhsa_user_sgpr_kernarg_segment_ptr 1
		.amdhsa_user_sgpr_dispatch_id 0
		.amdhsa_user_sgpr_flat_scratch_init 0
		.amdhsa_user_sgpr_private_segment_size 0
		.amdhsa_uses_dynamic_stack 0
		.amdhsa_system_sgpr_private_segment_wavefront_offset 0
		.amdhsa_system_sgpr_workgroup_id_x 1
		.amdhsa_system_sgpr_workgroup_id_y 0
		.amdhsa_system_sgpr_workgroup_id_z 1
		.amdhsa_system_sgpr_workgroup_info 0
		.amdhsa_system_vgpr_workitem_id 0
		.amdhsa_next_free_vgpr 22
		.amdhsa_next_free_sgpr 32
		.amdhsa_reserve_vcc 1
		.amdhsa_reserve_flat_scratch 0
		.amdhsa_float_round_mode_32 0
		.amdhsa_float_round_mode_16_64 0
		.amdhsa_float_denorm_mode_32 3
		.amdhsa_float_denorm_mode_16_64 3
		.amdhsa_dx10_clamp 1
		.amdhsa_ieee_mode 1
		.amdhsa_fp16_overflow 0
		.amdhsa_exception_fp_ieee_invalid_op 0
		.amdhsa_exception_fp_denorm_src 0
		.amdhsa_exception_fp_ieee_div_zero 0
		.amdhsa_exception_fp_ieee_overflow 0
		.amdhsa_exception_fp_ieee_underflow 0
		.amdhsa_exception_fp_ieee_inexact 0
		.amdhsa_exception_int_div_zero 0
	.end_amdhsa_kernel
	.section	.text._ZL19rocblas_her2_kernelIiLi512E19rocblas_complex_numIdEPKS1_PS1_EvbimT1_T2_lT_lS6_lS7_lT3_lS7_li,"axG",@progbits,_ZL19rocblas_her2_kernelIiLi512E19rocblas_complex_numIdEPKS1_PS1_EvbimT1_T2_lT_lS6_lS7_lT3_lS7_li,comdat
.Lfunc_end3:
	.size	_ZL19rocblas_her2_kernelIiLi512E19rocblas_complex_numIdEPKS1_PS1_EvbimT1_T2_lT_lS6_lS7_lT3_lS7_li, .Lfunc_end3-_ZL19rocblas_her2_kernelIiLi512E19rocblas_complex_numIdEPKS1_PS1_EvbimT1_T2_lT_lS6_lS7_lT3_lS7_li
                                        ; -- End function
	.set _ZL19rocblas_her2_kernelIiLi512E19rocblas_complex_numIdEPKS1_PS1_EvbimT1_T2_lT_lS6_lS7_lT3_lS7_li.num_vgpr, 22
	.set _ZL19rocblas_her2_kernelIiLi512E19rocblas_complex_numIdEPKS1_PS1_EvbimT1_T2_lT_lS6_lS7_lT3_lS7_li.num_agpr, 0
	.set _ZL19rocblas_her2_kernelIiLi512E19rocblas_complex_numIdEPKS1_PS1_EvbimT1_T2_lT_lS6_lS7_lT3_lS7_li.numbered_sgpr, 32
	.set _ZL19rocblas_her2_kernelIiLi512E19rocblas_complex_numIdEPKS1_PS1_EvbimT1_T2_lT_lS6_lS7_lT3_lS7_li.num_named_barrier, 0
	.set _ZL19rocblas_her2_kernelIiLi512E19rocblas_complex_numIdEPKS1_PS1_EvbimT1_T2_lT_lS6_lS7_lT3_lS7_li.private_seg_size, 0
	.set _ZL19rocblas_her2_kernelIiLi512E19rocblas_complex_numIdEPKS1_PS1_EvbimT1_T2_lT_lS6_lS7_lT3_lS7_li.uses_vcc, 1
	.set _ZL19rocblas_her2_kernelIiLi512E19rocblas_complex_numIdEPKS1_PS1_EvbimT1_T2_lT_lS6_lS7_lT3_lS7_li.uses_flat_scratch, 0
	.set _ZL19rocblas_her2_kernelIiLi512E19rocblas_complex_numIdEPKS1_PS1_EvbimT1_T2_lT_lS6_lS7_lT3_lS7_li.has_dyn_sized_stack, 0
	.set _ZL19rocblas_her2_kernelIiLi512E19rocblas_complex_numIdEPKS1_PS1_EvbimT1_T2_lT_lS6_lS7_lT3_lS7_li.has_recursion, 0
	.set _ZL19rocblas_her2_kernelIiLi512E19rocblas_complex_numIdEPKS1_PS1_EvbimT1_T2_lT_lS6_lS7_lT3_lS7_li.has_indirect_call, 0
	.section	.AMDGPU.csdata,"",@progbits
; Kernel info:
; codeLenInByte = 1344
; TotalNumSgprs: 36
; NumVgprs: 22
; ScratchSize: 0
; MemoryBound: 0
; FloatMode: 240
; IeeeMode: 1
; LDSByteSize: 0 bytes/workgroup (compile time only)
; SGPRBlocks: 4
; VGPRBlocks: 5
; NumSGPRsForWavesPerEU: 36
; NumVGPRsForWavesPerEU: 22
; Occupancy: 10
; WaveLimiterHint : 1
; COMPUTE_PGM_RSRC2:SCRATCH_EN: 0
; COMPUTE_PGM_RSRC2:USER_SGPR: 6
; COMPUTE_PGM_RSRC2:TRAP_HANDLER: 0
; COMPUTE_PGM_RSRC2:TGID_X_EN: 1
; COMPUTE_PGM_RSRC2:TGID_Y_EN: 0
; COMPUTE_PGM_RSRC2:TGID_Z_EN: 1
; COMPUTE_PGM_RSRC2:TIDIG_COMP_CNT: 0
	.section	.text._ZL19rocblas_her2_kernelIiLi512EPK19rocblas_complex_numIfEPKS3_PKPS1_EvbimT1_T2_lT_lSA_lSB_lT3_lSB_li,"axG",@progbits,_ZL19rocblas_her2_kernelIiLi512EPK19rocblas_complex_numIfEPKS3_PKPS1_EvbimT1_T2_lT_lSA_lSB_lT3_lSB_li,comdat
	.globl	_ZL19rocblas_her2_kernelIiLi512EPK19rocblas_complex_numIfEPKS3_PKPS1_EvbimT1_T2_lT_lSA_lSB_lT3_lSB_li ; -- Begin function _ZL19rocblas_her2_kernelIiLi512EPK19rocblas_complex_numIfEPKS3_PKPS1_EvbimT1_T2_lT_lSA_lSB_lT3_lSB_li
	.p2align	8
	.type	_ZL19rocblas_her2_kernelIiLi512EPK19rocblas_complex_numIfEPKS3_PKPS1_EvbimT1_T2_lT_lSA_lSB_lT3_lSB_li,@function
_ZL19rocblas_her2_kernelIiLi512EPK19rocblas_complex_numIfEPKS3_PKPS1_EvbimT1_T2_lT_lSA_lSB_lT3_lSB_li: ; @_ZL19rocblas_her2_kernelIiLi512EPK19rocblas_complex_numIfEPKS3_PKPS1_EvbimT1_T2_lT_lSA_lSB_lT3_lSB_li
; %bb.0:
	s_load_dwordx8 s[8:15], s[4:5], 0x8
	s_waitcnt lgkmcnt(0)
	s_load_dwordx2 s[2:3], s[10:11], 0x0
	s_waitcnt lgkmcnt(0)
	v_cmp_neq_f32_e64 s[10:11], s2, 0
	v_cmp_neq_f32_e64 s[16:17], s3, 0
	s_or_b64 s[10:11], s[10:11], s[16:17]
	s_andn2_b64 vcc, exec, s[10:11]
	s_cbranch_vccnz .LBB4_8
; %bb.1:
	s_load_dword s1, s[4:5], 0x8c
	v_mov_b32_e32 v1, 0
	v_mov_b32_e32 v2, s6
	s_mov_b32 s0, s7
	s_waitcnt lgkmcnt(0)
	s_and_b32 s1, s1, 0xffff
	v_mad_u64_u32 v[0:1], s[6:7], s1, v2, v[0:1]
	v_cmp_gt_u64_e32 vcc, s[8:9], v[0:1]
	s_and_saveexec_b64 s[6:7], vcc
	s_cbranch_execz .LBB4_8
; %bb.2:
	s_load_dwordx4 s[16:19], s[4:5], 0x58
	s_load_dword s10, s[4:5], 0x68
	s_mov_b32 s1, 0
	s_lshl_b64 s[0:1], s[0:1], 3
	v_not_b32_e32 v3, v0
	s_waitcnt lgkmcnt(0)
	s_add_u32 s6, s16, s0
	s_addc_u32 s7, s17, s1
	s_load_dwordx2 s[6:7], s[6:7], 0x0
	s_lshl_b64 s[16:17], s[18:19], 3
	v_mov_b32_e32 v4, s9
	v_not_b32_e32 v2, v1
	v_add_co_u32_e32 v3, vcc, s8, v3
	s_waitcnt lgkmcnt(0)
	s_add_u32 s6, s6, s16
	s_addc_u32 s7, s7, s17
	s_add_u32 s18, s12, s0
	s_addc_u32 s19, s13, s1
	s_load_dwordx2 s[24:25], s[18:19], 0x0
	s_load_dwordx2 s[26:27], s[4:5], 0x0
	s_load_dword s13, s[4:5], 0x28
	s_load_dwordx4 s[20:23], s[4:5], 0x38
	s_load_dword s16, s[4:5], 0x48
	s_lshl_b64 s[4:5], s[14:15], 3
	s_waitcnt lgkmcnt(0)
	s_add_u32 s11, s24, s4
	s_addc_u32 s12, s25, s5
	s_add_u32 s0, s20, s0
	s_addc_u32 s1, s21, s1
	s_load_dwordx2 s[0:1], s[0:1], 0x0
	s_lshl_b64 s[4:5], s[22:23], 3
	v_addc_co_u32_e32 v2, vcc, v4, v2, vcc
	s_waitcnt lgkmcnt(0)
	s_add_u32 s9, s0, s4
	s_addc_u32 s14, s1, s5
	s_bitcmp1_b32 s26, 0
	s_cselect_b64 vcc, -1, 0
	v_cndmask_b32_e32 v1, v2, v1, vcc
	v_cndmask_b32_e32 v0, v3, v0, vcc
	v_lshlrev_b64 v[1:2], 3, v[0:1]
	s_mov_b32 s0, 0
	v_cvt_f64_u32_e32 v[2:3], v2
	v_or_b32_e32 v1, 1, v1
	v_cvt_f64_u32_e32 v[4:5], v1
	s_brev_b32 s1, 8
	v_ldexp_f64 v[2:3], v[2:3], 32
	v_add_f64 v[1:2], v[2:3], v[4:5]
	v_mov_b32_e32 v3, 0x100
	v_cmp_gt_f64_e64 s[0:1], s[0:1], v[1:2]
	v_cndmask_b32_e64 v3, 0, v3, s[0:1]
	v_ldexp_f64 v[1:2], v[1:2], v3
	v_rsq_f64_e32 v[3:4], v[1:2]
	v_mul_f64 v[5:6], v[1:2], v[3:4]
	v_mul_f64 v[3:4], v[3:4], 0.5
	v_fma_f64 v[7:8], -v[3:4], v[5:6], 0.5
	v_fma_f64 v[5:6], v[5:6], v[7:8], v[5:6]
	v_fma_f64 v[3:4], v[3:4], v[7:8], v[3:4]
	v_fma_f64 v[7:8], -v[5:6], v[5:6], v[1:2]
	v_fma_f64 v[5:6], v[7:8], v[3:4], v[5:6]
	v_fma_f64 v[7:8], -v[5:6], v[5:6], v[1:2]
	v_fma_f64 v[3:4], v[7:8], v[3:4], v[5:6]
	v_mov_b32_e32 v5, 0xffffff80
	v_mov_b32_e32 v6, 0x260
	v_cndmask_b32_e64 v5, 0, v5, s[0:1]
	v_cmp_class_f64_e64 s[0:1], v[1:2], v6
	v_ldexp_f64 v[3:4], v[3:4], v5
	v_cndmask_b32_e64 v2, v4, v2, s[0:1]
	v_cndmask_b32_e64 v1, v3, v1, s[0:1]
	v_add_f64 v[1:2], v[1:2], -1.0
	v_cvt_i32_f64_e32 v1, v[1:2]
	v_lshrrev_b32_e32 v2, 31, v1
	v_add_u32_e32 v1, v1, v2
	v_ashrrev_i32_e32 v1, 1, v1
	v_add_u32_e32 v2, 1, v1
	v_mad_i64_i32 v[3:4], s[0:1], v2, v1, 0
	s_add_i32 s0, s27, -1
	v_sub_u32_e32 v2, s0, v1
	v_alignbit_b32 v3, v4, v3, 1
	v_sub_u32_e32 v3, v0, v3
	v_sub_u32_e32 v0, s0, v3
	v_cndmask_b32_e32 v2, v2, v1, vcc
	v_cndmask_b32_e32 v0, v0, v3, vcc
	v_cmp_le_i32_e32 vcc, v1, v3
	s_and_saveexec_b64 s[0:1], vcc
	s_xor_b64 s[0:1], exec, s[0:1]
	s_cbranch_execz .LBB4_6
; %bb.3:
	v_cmp_eq_u32_e32 vcc, v0, v2
	s_and_saveexec_b64 s[4:5], vcc
	s_cbranch_execz .LBB4_5
; %bb.4:
	v_mad_i64_i32 v[1:2], s[18:19], v0, s13, 0
	v_mad_i64_i32 v[5:6], s[18:19], v0, s16, 0
	v_lshlrev_b64 v[1:2], 3, v[1:2]
	v_mov_b32_e32 v7, s12
	v_add_co_u32_e32 v1, vcc, s11, v1
	v_addc_co_u32_e32 v2, vcc, v7, v2, vcc
	v_mad_i64_i32 v[3:4], s[18:19], v0, s10, 0
	flat_load_dwordx2 v[7:8], v[1:2]
	v_lshlrev_b64 v[1:2], 3, v[5:6]
	v_mov_b32_e32 v5, s14
	v_add_co_u32_e32 v1, vcc, s9, v1
	v_addc_co_u32_e32 v2, vcc, v5, v2, vcc
	flat_load_dwordx2 v[5:6], v[1:2]
	v_lshlrev_b64 v[2:3], 3, v[3:4]
	v_ashrrev_i32_e32 v1, 31, v0
	v_mov_b32_e32 v4, s7
	v_add_co_u32_e32 v2, vcc, s6, v2
	v_lshlrev_b64 v[0:1], 3, v[0:1]
	v_addc_co_u32_e32 v3, vcc, v4, v3, vcc
	v_add_co_u32_e32 v0, vcc, v2, v0
	v_addc_co_u32_e32 v1, vcc, v3, v1, vcc
	flat_load_dword v2, v[0:1]
	s_waitcnt vmcnt(0) lgkmcnt(0)
	v_mul_f32_e32 v4, s2, v8
	v_mul_f32_e32 v3, s3, v8
	v_fmac_f32_e32 v4, s3, v7
	v_fma_f32 v3, s2, v7, -v3
	v_mul_f32_e32 v9, s3, v6
	v_mul_f32_e32 v10, s3, v5
	v_fmac_f32_e32 v9, s2, v5
	v_fma_f32 v10, s2, v6, -v10
	v_mul_f32_e32 v11, v6, v4
	v_mul_f32_e32 v6, v6, v3
	v_mul_f32_e32 v12, v8, v10
	v_mul_f32_e32 v8, v8, v9
	v_fmac_f32_e32 v11, v5, v3
	v_fma_f32 v3, v5, v4, -v6
	v_fmac_f32_e32 v12, v7, v9
	v_fma_f32 v4, v7, v10, -v8
	v_add_f32_e32 v3, v3, v4
	v_add_f32_e32 v2, v2, v11
	;; [unrolled: 1-line block ×3, first 2 shown]
	flat_store_dwordx2 v[0:1], v[2:3]
.LBB4_5:
	s_or_b64 exec, exec, s[4:5]
                                        ; implicit-def: $vgpr0
                                        ; implicit-def: $vgpr2
.LBB4_6:
	s_andn2_saveexec_b64 s[0:1], s[0:1]
	s_cbranch_execz .LBB4_8
; %bb.7:
	v_mad_i64_i32 v[3:4], s[0:1], v0, s13, 0
	v_mad_i64_i32 v[5:6], s[0:1], v2, s16, 0
	v_lshlrev_b64 v[3:4], 3, v[3:4]
	v_mov_b32_e32 v7, s12
	v_add_co_u32_e32 v3, vcc, s11, v3
	v_addc_co_u32_e32 v4, vcc, v7, v4, vcc
	v_mad_i64_i32 v[7:8], s[0:1], v0, s16, 0
	v_lshlrev_b64 v[5:6], 3, v[5:6]
	v_mov_b32_e32 v9, s14
	v_add_co_u32_e32 v5, vcc, s9, v5
	v_lshlrev_b64 v[7:8], 3, v[7:8]
	v_addc_co_u32_e32 v6, vcc, v9, v6, vcc
	v_mov_b32_e32 v11, s14
	v_mad_i64_i32 v[9:10], s[0:1], v2, s13, 0
	v_add_co_u32_e32 v7, vcc, s9, v7
	v_addc_co_u32_e32 v8, vcc, v11, v8, vcc
	flat_load_dwordx2 v[3:4], v[3:4]
	s_nop 0
	flat_load_dwordx2 v[11:12], v[5:6]
	flat_load_dwordx2 v[13:14], v[7:8]
	v_mad_i64_i32 v[7:8], s[0:1], v2, s10, 0
	v_lshlrev_b64 v[5:6], 3, v[9:10]
	v_mov_b32_e32 v9, s12
	v_add_co_u32_e32 v5, vcc, s11, v5
	v_lshlrev_b64 v[7:8], 3, v[7:8]
	v_ashrrev_i32_e32 v1, 31, v0
	v_addc_co_u32_e32 v6, vcc, v9, v6, vcc
	v_mov_b32_e32 v2, s7
	v_add_co_u32_e32 v7, vcc, s6, v7
	v_lshlrev_b64 v[0:1], 3, v[0:1]
	flat_load_dwordx2 v[5:6], v[5:6]
	v_addc_co_u32_e32 v2, vcc, v2, v8, vcc
	v_add_co_u32_e32 v0, vcc, v7, v0
	v_addc_co_u32_e32 v1, vcc, v2, v1, vcc
	flat_load_dwordx2 v[7:8], v[0:1]
	s_waitcnt vmcnt(0) lgkmcnt(0)
	v_mul_f32_e32 v2, s3, v4
	v_mul_f32_e32 v4, s2, v4
	;; [unrolled: 1-line block ×4, first 2 shown]
	v_fma_f32 v2, s2, v3, -v2
	v_fmac_f32_e32 v4, s3, v3
	v_fmac_f32_e32 v9, s2, v13
	v_fma_f32 v3, s2, v14, -v10
	v_mul_f32_e32 v10, v12, v4
	v_mul_f32_e32 v12, v12, v2
	v_fmac_f32_e32 v10, v11, v2
	v_fma_f32 v2, v11, v4, -v12
	v_mul_f32_e32 v13, v6, v3
	v_mul_f32_e32 v6, v6, v9
	v_fmac_f32_e32 v13, v5, v9
	v_fma_f32 v3, v5, v3, -v6
	v_add_f32_e32 v4, v10, v13
	v_add_f32_e32 v3, v2, v3
	;; [unrolled: 1-line block ×4, first 2 shown]
	flat_store_dwordx2 v[0:1], v[2:3]
.LBB4_8:
	s_endpgm
	.section	.rodata,"a",@progbits
	.p2align	6, 0x0
	.amdhsa_kernel _ZL19rocblas_her2_kernelIiLi512EPK19rocblas_complex_numIfEPKS3_PKPS1_EvbimT1_T2_lT_lSA_lSB_lT3_lSB_li
		.amdhsa_group_segment_fixed_size 0
		.amdhsa_private_segment_fixed_size 0
		.amdhsa_kernarg_size 384
		.amdhsa_user_sgpr_count 6
		.amdhsa_user_sgpr_private_segment_buffer 1
		.amdhsa_user_sgpr_dispatch_ptr 0
		.amdhsa_user_sgpr_queue_ptr 0
		.amdhsa_user_sgpr_kernarg_segment_ptr 1
		.amdhsa_user_sgpr_dispatch_id 0
		.amdhsa_user_sgpr_flat_scratch_init 0
		.amdhsa_user_sgpr_private_segment_size 0
		.amdhsa_uses_dynamic_stack 0
		.amdhsa_system_sgpr_private_segment_wavefront_offset 0
		.amdhsa_system_sgpr_workgroup_id_x 1
		.amdhsa_system_sgpr_workgroup_id_y 0
		.amdhsa_system_sgpr_workgroup_id_z 1
		.amdhsa_system_sgpr_workgroup_info 0
		.amdhsa_system_vgpr_workitem_id 0
		.amdhsa_next_free_vgpr 15
		.amdhsa_next_free_sgpr 28
		.amdhsa_reserve_vcc 1
		.amdhsa_reserve_flat_scratch 0
		.amdhsa_float_round_mode_32 0
		.amdhsa_float_round_mode_16_64 0
		.amdhsa_float_denorm_mode_32 3
		.amdhsa_float_denorm_mode_16_64 3
		.amdhsa_dx10_clamp 1
		.amdhsa_ieee_mode 1
		.amdhsa_fp16_overflow 0
		.amdhsa_exception_fp_ieee_invalid_op 0
		.amdhsa_exception_fp_denorm_src 0
		.amdhsa_exception_fp_ieee_div_zero 0
		.amdhsa_exception_fp_ieee_overflow 0
		.amdhsa_exception_fp_ieee_underflow 0
		.amdhsa_exception_fp_ieee_inexact 0
		.amdhsa_exception_int_div_zero 0
	.end_amdhsa_kernel
	.section	.text._ZL19rocblas_her2_kernelIiLi512EPK19rocblas_complex_numIfEPKS3_PKPS1_EvbimT1_T2_lT_lSA_lSB_lT3_lSB_li,"axG",@progbits,_ZL19rocblas_her2_kernelIiLi512EPK19rocblas_complex_numIfEPKS3_PKPS1_EvbimT1_T2_lT_lSA_lSB_lT3_lSB_li,comdat
.Lfunc_end4:
	.size	_ZL19rocblas_her2_kernelIiLi512EPK19rocblas_complex_numIfEPKS3_PKPS1_EvbimT1_T2_lT_lSA_lSB_lT3_lSB_li, .Lfunc_end4-_ZL19rocblas_her2_kernelIiLi512EPK19rocblas_complex_numIfEPKS3_PKPS1_EvbimT1_T2_lT_lSA_lSB_lT3_lSB_li
                                        ; -- End function
	.set _ZL19rocblas_her2_kernelIiLi512EPK19rocblas_complex_numIfEPKS3_PKPS1_EvbimT1_T2_lT_lSA_lSB_lT3_lSB_li.num_vgpr, 15
	.set _ZL19rocblas_her2_kernelIiLi512EPK19rocblas_complex_numIfEPKS3_PKPS1_EvbimT1_T2_lT_lSA_lSB_lT3_lSB_li.num_agpr, 0
	.set _ZL19rocblas_her2_kernelIiLi512EPK19rocblas_complex_numIfEPKS3_PKPS1_EvbimT1_T2_lT_lSA_lSB_lT3_lSB_li.numbered_sgpr, 28
	.set _ZL19rocblas_her2_kernelIiLi512EPK19rocblas_complex_numIfEPKS3_PKPS1_EvbimT1_T2_lT_lSA_lSB_lT3_lSB_li.num_named_barrier, 0
	.set _ZL19rocblas_her2_kernelIiLi512EPK19rocblas_complex_numIfEPKS3_PKPS1_EvbimT1_T2_lT_lSA_lSB_lT3_lSB_li.private_seg_size, 0
	.set _ZL19rocblas_her2_kernelIiLi512EPK19rocblas_complex_numIfEPKS3_PKPS1_EvbimT1_T2_lT_lSA_lSB_lT3_lSB_li.uses_vcc, 1
	.set _ZL19rocblas_her2_kernelIiLi512EPK19rocblas_complex_numIfEPKS3_PKPS1_EvbimT1_T2_lT_lSA_lSB_lT3_lSB_li.uses_flat_scratch, 0
	.set _ZL19rocblas_her2_kernelIiLi512EPK19rocblas_complex_numIfEPKS3_PKPS1_EvbimT1_T2_lT_lSA_lSB_lT3_lSB_li.has_dyn_sized_stack, 0
	.set _ZL19rocblas_her2_kernelIiLi512EPK19rocblas_complex_numIfEPKS3_PKPS1_EvbimT1_T2_lT_lSA_lSB_lT3_lSB_li.has_recursion, 0
	.set _ZL19rocblas_her2_kernelIiLi512EPK19rocblas_complex_numIfEPKS3_PKPS1_EvbimT1_T2_lT_lSA_lSB_lT3_lSB_li.has_indirect_call, 0
	.section	.AMDGPU.csdata,"",@progbits
; Kernel info:
; codeLenInByte = 1160
; TotalNumSgprs: 32
; NumVgprs: 15
; ScratchSize: 0
; MemoryBound: 0
; FloatMode: 240
; IeeeMode: 1
; LDSByteSize: 0 bytes/workgroup (compile time only)
; SGPRBlocks: 3
; VGPRBlocks: 3
; NumSGPRsForWavesPerEU: 32
; NumVGPRsForWavesPerEU: 15
; Occupancy: 10
; WaveLimiterHint : 1
; COMPUTE_PGM_RSRC2:SCRATCH_EN: 0
; COMPUTE_PGM_RSRC2:USER_SGPR: 6
; COMPUTE_PGM_RSRC2:TRAP_HANDLER: 0
; COMPUTE_PGM_RSRC2:TGID_X_EN: 1
; COMPUTE_PGM_RSRC2:TGID_Y_EN: 0
; COMPUTE_PGM_RSRC2:TGID_Z_EN: 1
; COMPUTE_PGM_RSRC2:TIDIG_COMP_CNT: 0
	.section	.text._ZL19rocblas_her2_kernelIiLi512E19rocblas_complex_numIfEPKPKS1_PKPS1_EvbimT1_T2_lT_lSA_lSB_lT3_lSB_li,"axG",@progbits,_ZL19rocblas_her2_kernelIiLi512E19rocblas_complex_numIfEPKPKS1_PKPS1_EvbimT1_T2_lT_lSA_lSB_lT3_lSB_li,comdat
	.globl	_ZL19rocblas_her2_kernelIiLi512E19rocblas_complex_numIfEPKPKS1_PKPS1_EvbimT1_T2_lT_lSA_lSB_lT3_lSB_li ; -- Begin function _ZL19rocblas_her2_kernelIiLi512E19rocblas_complex_numIfEPKPKS1_PKPS1_EvbimT1_T2_lT_lSA_lSB_lT3_lSB_li
	.p2align	8
	.type	_ZL19rocblas_her2_kernelIiLi512E19rocblas_complex_numIfEPKPKS1_PKPS1_EvbimT1_T2_lT_lSA_lSB_lT3_lSB_li,@function
_ZL19rocblas_her2_kernelIiLi512E19rocblas_complex_numIfEPKPKS1_PKPS1_EvbimT1_T2_lT_lSA_lSB_lT3_lSB_li: ; @_ZL19rocblas_her2_kernelIiLi512E19rocblas_complex_numIfEPKPKS1_PKPS1_EvbimT1_T2_lT_lSA_lSB_lT3_lSB_li
; %bb.0:
	s_load_dwordx2 s[2:3], s[4:5], 0x10
	s_waitcnt lgkmcnt(0)
	v_cmp_neq_f32_e64 s[0:1], s2, 0
	v_cmp_neq_f32_e64 s[10:11], s3, 0
	s_or_b64 s[0:1], s[0:1], s[10:11]
	s_andn2_b64 vcc, exec, s[0:1]
	s_cbranch_vccnz .LBB5_8
; %bb.1:
	s_mov_b32 s8, s7
	s_load_dword s7, s[4:5], 0x8c
	s_load_dwordx2 s[0:1], s[4:5], 0x8
	v_mov_b32_e32 v1, 0
	v_mov_b32_e32 v2, s6
	s_waitcnt lgkmcnt(0)
	s_and_b32 s6, s7, 0xffff
	v_mad_u64_u32 v[0:1], s[6:7], s6, v2, v[0:1]
	v_cmp_gt_u64_e32 vcc, s[0:1], v[0:1]
	s_and_saveexec_b64 s[6:7], vcc
	s_cbranch_execz .LBB5_8
; %bb.2:
	s_load_dwordx4 s[12:15], s[4:5], 0x58
	s_mov_b32 s9, 0
	s_lshl_b64 s[24:25], s[8:9], 3
	v_not_b32_e32 v3, v0
	v_not_b32_e32 v2, v1
	s_waitcnt lgkmcnt(0)
	s_add_u32 s8, s12, s24
	s_addc_u32 s9, s13, s25
	s_load_dwordx2 s[10:11], s[8:9], 0x0
	s_load_dwordx4 s[16:19], s[4:5], 0x18
	s_lshl_b64 s[8:9], s[14:15], 3
	v_mov_b32_e32 v4, s1
	v_add_co_u32_e32 v3, vcc, s0, v3
	s_waitcnt lgkmcnt(0)
	s_add_u32 s6, s10, s8
	s_addc_u32 s8, s11, s9
	s_add_u32 s10, s16, s24
	s_addc_u32 s11, s17, s25
	s_load_dwordx2 s[14:15], s[10:11], 0x0
	s_load_dwordx2 s[16:17], s[4:5], 0x0
	s_load_dwordx4 s[20:23], s[4:5], 0x38
	s_load_dword s12, s[4:5], 0x48
	s_lshl_b64 s[10:11], s[18:19], 3
	s_waitcnt lgkmcnt(0)
	s_add_u32 s9, s14, s10
	s_addc_u32 s10, s15, s11
	s_add_u32 s14, s20, s24
	s_addc_u32 s15, s21, s25
	s_load_dwordx2 s[14:15], s[14:15], 0x0
	s_lshl_b64 s[18:19], s[22:23], 3
	v_addc_co_u32_e32 v2, vcc, v4, v2, vcc
	s_mov_b32 s0, 0
	s_waitcnt lgkmcnt(0)
	s_add_u32 s11, s14, s18
	s_addc_u32 s13, s15, s19
	s_bitcmp1_b32 s16, 0
	s_cselect_b64 vcc, -1, 0
	v_cndmask_b32_e32 v1, v2, v1, vcc
	v_cndmask_b32_e32 v0, v3, v0, vcc
	v_lshlrev_b64 v[1:2], 3, v[0:1]
	s_brev_b32 s1, 8
	v_cvt_f64_u32_e32 v[2:3], v2
	v_or_b32_e32 v1, 1, v1
	v_cvt_f64_u32_e32 v[4:5], v1
	s_load_dword s7, s[4:5], 0x68
	s_load_dword s14, s[4:5], 0x28
	v_ldexp_f64 v[2:3], v[2:3], 32
	v_add_f64 v[1:2], v[2:3], v[4:5]
	v_mov_b32_e32 v3, 0x100
	v_cmp_gt_f64_e64 s[0:1], s[0:1], v[1:2]
	v_cndmask_b32_e64 v3, 0, v3, s[0:1]
	v_ldexp_f64 v[1:2], v[1:2], v3
	v_rsq_f64_e32 v[3:4], v[1:2]
	v_mul_f64 v[5:6], v[1:2], v[3:4]
	v_mul_f64 v[3:4], v[3:4], 0.5
	v_fma_f64 v[7:8], -v[3:4], v[5:6], 0.5
	v_fma_f64 v[5:6], v[5:6], v[7:8], v[5:6]
	v_fma_f64 v[3:4], v[3:4], v[7:8], v[3:4]
	v_fma_f64 v[7:8], -v[5:6], v[5:6], v[1:2]
	v_fma_f64 v[5:6], v[7:8], v[3:4], v[5:6]
	v_fma_f64 v[7:8], -v[5:6], v[5:6], v[1:2]
	v_fma_f64 v[3:4], v[7:8], v[3:4], v[5:6]
	v_mov_b32_e32 v5, 0xffffff80
	v_mov_b32_e32 v6, 0x260
	v_cndmask_b32_e64 v5, 0, v5, s[0:1]
	v_cmp_class_f64_e64 s[0:1], v[1:2], v6
	v_ldexp_f64 v[3:4], v[3:4], v5
	v_cndmask_b32_e64 v2, v4, v2, s[0:1]
	v_cndmask_b32_e64 v1, v3, v1, s[0:1]
	v_add_f64 v[1:2], v[1:2], -1.0
	v_cvt_i32_f64_e32 v1, v[1:2]
	v_lshrrev_b32_e32 v2, 31, v1
	v_add_u32_e32 v1, v1, v2
	v_ashrrev_i32_e32 v1, 1, v1
	v_add_u32_e32 v2, 1, v1
	v_mad_i64_i32 v[3:4], s[0:1], v2, v1, 0
	s_add_i32 s0, s17, -1
	v_sub_u32_e32 v2, s0, v1
	v_alignbit_b32 v3, v4, v3, 1
	v_sub_u32_e32 v3, v0, v3
	v_sub_u32_e32 v0, s0, v3
	v_cndmask_b32_e32 v2, v2, v1, vcc
	v_cndmask_b32_e32 v0, v0, v3, vcc
	v_cmp_le_i32_e32 vcc, v1, v3
	s_and_saveexec_b64 s[0:1], vcc
	s_xor_b64 s[0:1], exec, s[0:1]
	s_cbranch_execz .LBB5_6
; %bb.3:
	v_cmp_eq_u32_e32 vcc, v0, v2
	s_and_saveexec_b64 s[4:5], vcc
	s_cbranch_execz .LBB5_5
; %bb.4:
	s_waitcnt lgkmcnt(0)
	v_mad_i64_i32 v[1:2], s[16:17], v0, s14, 0
	v_mad_i64_i32 v[5:6], s[16:17], v0, s12, 0
	v_lshlrev_b64 v[1:2], 3, v[1:2]
	v_mov_b32_e32 v7, s10
	v_add_co_u32_e32 v1, vcc, s9, v1
	v_addc_co_u32_e32 v2, vcc, v7, v2, vcc
	v_mad_i64_i32 v[3:4], s[16:17], v0, s7, 0
	flat_load_dwordx2 v[7:8], v[1:2]
	v_lshlrev_b64 v[1:2], 3, v[5:6]
	v_mov_b32_e32 v5, s13
	v_add_co_u32_e32 v1, vcc, s11, v1
	v_addc_co_u32_e32 v2, vcc, v5, v2, vcc
	flat_load_dwordx2 v[5:6], v[1:2]
	v_lshlrev_b64 v[2:3], 3, v[3:4]
	v_ashrrev_i32_e32 v1, 31, v0
	v_mov_b32_e32 v4, s8
	v_add_co_u32_e32 v2, vcc, s6, v2
	v_lshlrev_b64 v[0:1], 3, v[0:1]
	v_addc_co_u32_e32 v3, vcc, v4, v3, vcc
	v_add_co_u32_e32 v0, vcc, v2, v0
	v_addc_co_u32_e32 v1, vcc, v3, v1, vcc
	flat_load_dword v2, v[0:1]
	s_waitcnt vmcnt(0) lgkmcnt(0)
	v_mul_f32_e32 v4, s2, v8
	v_mul_f32_e32 v3, s3, v8
	v_fmac_f32_e32 v4, s3, v7
	v_fma_f32 v3, s2, v7, -v3
	v_mul_f32_e32 v9, s3, v6
	v_mul_f32_e32 v10, s3, v5
	v_fmac_f32_e32 v9, s2, v5
	v_fma_f32 v10, s2, v6, -v10
	v_mul_f32_e32 v11, v6, v4
	v_mul_f32_e32 v6, v6, v3
	;; [unrolled: 1-line block ×4, first 2 shown]
	v_fmac_f32_e32 v11, v5, v3
	v_fma_f32 v3, v5, v4, -v6
	v_fmac_f32_e32 v12, v7, v9
	v_fma_f32 v4, v7, v10, -v8
	v_add_f32_e32 v3, v3, v4
	v_add_f32_e32 v2, v2, v11
	;; [unrolled: 1-line block ×3, first 2 shown]
	flat_store_dwordx2 v[0:1], v[2:3]
.LBB5_5:
	s_or_b64 exec, exec, s[4:5]
                                        ; implicit-def: $vgpr0
                                        ; implicit-def: $vgpr2
.LBB5_6:
	s_andn2_saveexec_b64 s[0:1], s[0:1]
	s_cbranch_execz .LBB5_8
; %bb.7:
	s_waitcnt lgkmcnt(0)
	v_mad_i64_i32 v[3:4], s[0:1], v0, s14, 0
	v_mad_i64_i32 v[5:6], s[0:1], v2, s12, 0
	v_lshlrev_b64 v[3:4], 3, v[3:4]
	v_mov_b32_e32 v7, s10
	v_add_co_u32_e32 v3, vcc, s9, v3
	v_addc_co_u32_e32 v4, vcc, v7, v4, vcc
	v_mad_i64_i32 v[7:8], s[0:1], v0, s12, 0
	v_lshlrev_b64 v[5:6], 3, v[5:6]
	v_mov_b32_e32 v9, s13
	v_add_co_u32_e32 v5, vcc, s11, v5
	v_lshlrev_b64 v[7:8], 3, v[7:8]
	v_addc_co_u32_e32 v6, vcc, v9, v6, vcc
	v_mov_b32_e32 v11, s13
	v_mad_i64_i32 v[9:10], s[0:1], v2, s14, 0
	v_add_co_u32_e32 v7, vcc, s11, v7
	v_addc_co_u32_e32 v8, vcc, v11, v8, vcc
	flat_load_dwordx2 v[3:4], v[3:4]
	s_nop 0
	flat_load_dwordx2 v[11:12], v[5:6]
	flat_load_dwordx2 v[13:14], v[7:8]
	v_mad_i64_i32 v[7:8], s[0:1], v2, s7, 0
	v_lshlrev_b64 v[5:6], 3, v[9:10]
	v_mov_b32_e32 v9, s10
	v_add_co_u32_e32 v5, vcc, s9, v5
	v_lshlrev_b64 v[7:8], 3, v[7:8]
	v_ashrrev_i32_e32 v1, 31, v0
	v_addc_co_u32_e32 v6, vcc, v9, v6, vcc
	v_mov_b32_e32 v2, s8
	v_add_co_u32_e32 v7, vcc, s6, v7
	v_lshlrev_b64 v[0:1], 3, v[0:1]
	flat_load_dwordx2 v[5:6], v[5:6]
	v_addc_co_u32_e32 v2, vcc, v2, v8, vcc
	v_add_co_u32_e32 v0, vcc, v7, v0
	v_addc_co_u32_e32 v1, vcc, v2, v1, vcc
	flat_load_dwordx2 v[7:8], v[0:1]
	s_waitcnt vmcnt(0) lgkmcnt(0)
	v_mul_f32_e32 v2, s3, v4
	v_mul_f32_e32 v4, s2, v4
	;; [unrolled: 1-line block ×4, first 2 shown]
	v_fma_f32 v2, s2, v3, -v2
	v_fmac_f32_e32 v4, s3, v3
	v_fmac_f32_e32 v9, s2, v13
	v_fma_f32 v3, s2, v14, -v10
	v_mul_f32_e32 v10, v12, v4
	v_mul_f32_e32 v12, v12, v2
	v_fmac_f32_e32 v10, v11, v2
	v_fma_f32 v2, v11, v4, -v12
	v_mul_f32_e32 v13, v6, v3
	v_mul_f32_e32 v6, v6, v9
	v_fmac_f32_e32 v13, v5, v9
	v_fma_f32 v3, v5, v3, -v6
	v_add_f32_e32 v4, v10, v13
	v_add_f32_e32 v3, v2, v3
	;; [unrolled: 1-line block ×4, first 2 shown]
	flat_store_dwordx2 v[0:1], v[2:3]
.LBB5_8:
	s_endpgm
	.section	.rodata,"a",@progbits
	.p2align	6, 0x0
	.amdhsa_kernel _ZL19rocblas_her2_kernelIiLi512E19rocblas_complex_numIfEPKPKS1_PKPS1_EvbimT1_T2_lT_lSA_lSB_lT3_lSB_li
		.amdhsa_group_segment_fixed_size 0
		.amdhsa_private_segment_fixed_size 0
		.amdhsa_kernarg_size 384
		.amdhsa_user_sgpr_count 6
		.amdhsa_user_sgpr_private_segment_buffer 1
		.amdhsa_user_sgpr_dispatch_ptr 0
		.amdhsa_user_sgpr_queue_ptr 0
		.amdhsa_user_sgpr_kernarg_segment_ptr 1
		.amdhsa_user_sgpr_dispatch_id 0
		.amdhsa_user_sgpr_flat_scratch_init 0
		.amdhsa_user_sgpr_private_segment_size 0
		.amdhsa_uses_dynamic_stack 0
		.amdhsa_system_sgpr_private_segment_wavefront_offset 0
		.amdhsa_system_sgpr_workgroup_id_x 1
		.amdhsa_system_sgpr_workgroup_id_y 0
		.amdhsa_system_sgpr_workgroup_id_z 1
		.amdhsa_system_sgpr_workgroup_info 0
		.amdhsa_system_vgpr_workitem_id 0
		.amdhsa_next_free_vgpr 15
		.amdhsa_next_free_sgpr 26
		.amdhsa_reserve_vcc 1
		.amdhsa_reserve_flat_scratch 0
		.amdhsa_float_round_mode_32 0
		.amdhsa_float_round_mode_16_64 0
		.amdhsa_float_denorm_mode_32 3
		.amdhsa_float_denorm_mode_16_64 3
		.amdhsa_dx10_clamp 1
		.amdhsa_ieee_mode 1
		.amdhsa_fp16_overflow 0
		.amdhsa_exception_fp_ieee_invalid_op 0
		.amdhsa_exception_fp_denorm_src 0
		.amdhsa_exception_fp_ieee_div_zero 0
		.amdhsa_exception_fp_ieee_overflow 0
		.amdhsa_exception_fp_ieee_underflow 0
		.amdhsa_exception_fp_ieee_inexact 0
		.amdhsa_exception_int_div_zero 0
	.end_amdhsa_kernel
	.section	.text._ZL19rocblas_her2_kernelIiLi512E19rocblas_complex_numIfEPKPKS1_PKPS1_EvbimT1_T2_lT_lSA_lSB_lT3_lSB_li,"axG",@progbits,_ZL19rocblas_her2_kernelIiLi512E19rocblas_complex_numIfEPKPKS1_PKPS1_EvbimT1_T2_lT_lSA_lSB_lT3_lSB_li,comdat
.Lfunc_end5:
	.size	_ZL19rocblas_her2_kernelIiLi512E19rocblas_complex_numIfEPKPKS1_PKPS1_EvbimT1_T2_lT_lSA_lSB_lT3_lSB_li, .Lfunc_end5-_ZL19rocblas_her2_kernelIiLi512E19rocblas_complex_numIfEPKPKS1_PKPS1_EvbimT1_T2_lT_lSA_lSB_lT3_lSB_li
                                        ; -- End function
	.set _ZL19rocblas_her2_kernelIiLi512E19rocblas_complex_numIfEPKPKS1_PKPS1_EvbimT1_T2_lT_lSA_lSB_lT3_lSB_li.num_vgpr, 15
	.set _ZL19rocblas_her2_kernelIiLi512E19rocblas_complex_numIfEPKPKS1_PKPS1_EvbimT1_T2_lT_lSA_lSB_lT3_lSB_li.num_agpr, 0
	.set _ZL19rocblas_her2_kernelIiLi512E19rocblas_complex_numIfEPKPKS1_PKPS1_EvbimT1_T2_lT_lSA_lSB_lT3_lSB_li.numbered_sgpr, 26
	.set _ZL19rocblas_her2_kernelIiLi512E19rocblas_complex_numIfEPKPKS1_PKPS1_EvbimT1_T2_lT_lSA_lSB_lT3_lSB_li.num_named_barrier, 0
	.set _ZL19rocblas_her2_kernelIiLi512E19rocblas_complex_numIfEPKPKS1_PKPS1_EvbimT1_T2_lT_lSA_lSB_lT3_lSB_li.private_seg_size, 0
	.set _ZL19rocblas_her2_kernelIiLi512E19rocblas_complex_numIfEPKPKS1_PKPS1_EvbimT1_T2_lT_lSA_lSB_lT3_lSB_li.uses_vcc, 1
	.set _ZL19rocblas_her2_kernelIiLi512E19rocblas_complex_numIfEPKPKS1_PKPS1_EvbimT1_T2_lT_lSA_lSB_lT3_lSB_li.uses_flat_scratch, 0
	.set _ZL19rocblas_her2_kernelIiLi512E19rocblas_complex_numIfEPKPKS1_PKPS1_EvbimT1_T2_lT_lSA_lSB_lT3_lSB_li.has_dyn_sized_stack, 0
	.set _ZL19rocblas_her2_kernelIiLi512E19rocblas_complex_numIfEPKPKS1_PKPS1_EvbimT1_T2_lT_lSA_lSB_lT3_lSB_li.has_recursion, 0
	.set _ZL19rocblas_her2_kernelIiLi512E19rocblas_complex_numIfEPKPKS1_PKPS1_EvbimT1_T2_lT_lSA_lSB_lT3_lSB_li.has_indirect_call, 0
	.section	.AMDGPU.csdata,"",@progbits
; Kernel info:
; codeLenInByte = 1172
; TotalNumSgprs: 30
; NumVgprs: 15
; ScratchSize: 0
; MemoryBound: 0
; FloatMode: 240
; IeeeMode: 1
; LDSByteSize: 0 bytes/workgroup (compile time only)
; SGPRBlocks: 3
; VGPRBlocks: 3
; NumSGPRsForWavesPerEU: 30
; NumVGPRsForWavesPerEU: 15
; Occupancy: 10
; WaveLimiterHint : 1
; COMPUTE_PGM_RSRC2:SCRATCH_EN: 0
; COMPUTE_PGM_RSRC2:USER_SGPR: 6
; COMPUTE_PGM_RSRC2:TRAP_HANDLER: 0
; COMPUTE_PGM_RSRC2:TGID_X_EN: 1
; COMPUTE_PGM_RSRC2:TGID_Y_EN: 0
; COMPUTE_PGM_RSRC2:TGID_Z_EN: 1
; COMPUTE_PGM_RSRC2:TIDIG_COMP_CNT: 0
	.section	.text._ZL19rocblas_her2_kernelIiLi512EPK19rocblas_complex_numIdEPKS3_PKPS1_EvbimT1_T2_lT_lSA_lSB_lT3_lSB_li,"axG",@progbits,_ZL19rocblas_her2_kernelIiLi512EPK19rocblas_complex_numIdEPKS3_PKPS1_EvbimT1_T2_lT_lSA_lSB_lT3_lSB_li,comdat
	.globl	_ZL19rocblas_her2_kernelIiLi512EPK19rocblas_complex_numIdEPKS3_PKPS1_EvbimT1_T2_lT_lSA_lSB_lT3_lSB_li ; -- Begin function _ZL19rocblas_her2_kernelIiLi512EPK19rocblas_complex_numIdEPKS3_PKPS1_EvbimT1_T2_lT_lSA_lSB_lT3_lSB_li
	.p2align	8
	.type	_ZL19rocblas_her2_kernelIiLi512EPK19rocblas_complex_numIdEPKS3_PKPS1_EvbimT1_T2_lT_lSA_lSB_lT3_lSB_li,@function
_ZL19rocblas_her2_kernelIiLi512EPK19rocblas_complex_numIdEPKS3_PKPS1_EvbimT1_T2_lT_lSA_lSB_lT3_lSB_li: ; @_ZL19rocblas_her2_kernelIiLi512EPK19rocblas_complex_numIdEPKS3_PKPS1_EvbimT1_T2_lT_lSA_lSB_lT3_lSB_li
; %bb.0:
	s_load_dwordx8 s[8:15], s[4:5], 0x8
	s_waitcnt lgkmcnt(0)
	s_load_dwordx4 s[16:19], s[10:11], 0x0
	s_waitcnt lgkmcnt(0)
	v_cmp_neq_f64_e64 s[2:3], s[16:17], 0
	v_cmp_neq_f64_e64 s[10:11], s[18:19], 0
	s_or_b64 s[2:3], s[2:3], s[10:11]
	s_andn2_b64 vcc, exec, s[2:3]
	s_cbranch_vccnz .LBB6_8
; %bb.1:
	s_load_dword s1, s[4:5], 0x8c
	v_mov_b32_e32 v1, 0
	v_mov_b32_e32 v2, s6
	s_waitcnt lgkmcnt(0)
	s_and_b32 s1, s1, 0xffff
	v_mad_u64_u32 v[0:1], s[2:3], s1, v2, v[0:1]
	v_cmp_gt_u64_e32 vcc, s[8:9], v[0:1]
	s_and_saveexec_b64 s[2:3], vcc
	s_cbranch_execz .LBB6_8
; %bb.2:
	s_load_dwordx4 s[20:23], s[4:5], 0x58
	s_mov_b32 s0, s7
	s_mov_b32 s1, 0
	s_lshl_b64 s[24:25], s[0:1], 3
	s_load_dword s7, s[4:5], 0x68
	s_waitcnt lgkmcnt(0)
	s_add_u32 s0, s20, s24
	s_addc_u32 s1, s21, s25
	s_load_dwordx2 s[0:1], s[0:1], 0x0
	s_lshl_b64 s[2:3], s[22:23], 4
	v_not_b32_e32 v3, v0
	v_mov_b32_e32 v4, s9
	v_not_b32_e32 v2, v1
	s_waitcnt lgkmcnt(0)
	s_add_u32 s6, s0, s2
	s_addc_u32 s10, s1, s3
	s_add_u32 s20, s12, s24
	s_addc_u32 s21, s13, s25
	s_load_dwordx2 s[22:23], s[20:21], 0x0
	s_load_dwordx2 s[26:27], s[4:5], 0x0
	s_load_dword s11, s[4:5], 0x28
	s_load_dwordx4 s[0:3], s[4:5], 0x38
	s_load_dword s12, s[4:5], 0x48
	s_lshl_b64 s[4:5], s[14:15], 4
	s_waitcnt lgkmcnt(0)
	s_add_u32 s4, s22, s4
	s_addc_u32 s5, s23, s5
	s_add_u32 s0, s0, s24
	s_addc_u32 s1, s1, s25
	s_load_dwordx2 s[0:1], s[0:1], 0x0
	s_lshl_b64 s[2:3], s[2:3], 4
	v_add_co_u32_e32 v3, vcc, s8, v3
	v_addc_co_u32_e32 v2, vcc, v4, v2, vcc
	s_waitcnt lgkmcnt(0)
	s_add_u32 s9, s0, s2
	s_addc_u32 s13, s1, s3
	s_bitcmp1_b32 s26, 0
	s_cselect_b64 vcc, -1, 0
	v_cndmask_b32_e32 v1, v2, v1, vcc
	v_cndmask_b32_e32 v0, v3, v0, vcc
	v_lshlrev_b64 v[1:2], 3, v[0:1]
	s_mov_b32 s0, 0
	v_cvt_f64_u32_e32 v[2:3], v2
	v_or_b32_e32 v1, 1, v1
	v_cvt_f64_u32_e32 v[4:5], v1
	s_brev_b32 s1, 8
	v_ldexp_f64 v[2:3], v[2:3], 32
	v_add_f64 v[1:2], v[2:3], v[4:5]
	v_mov_b32_e32 v3, 0x100
	v_cmp_gt_f64_e64 s[0:1], s[0:1], v[1:2]
	v_cndmask_b32_e64 v3, 0, v3, s[0:1]
	v_ldexp_f64 v[1:2], v[1:2], v3
	v_rsq_f64_e32 v[3:4], v[1:2]
	v_mul_f64 v[5:6], v[1:2], v[3:4]
	v_mul_f64 v[3:4], v[3:4], 0.5
	v_fma_f64 v[7:8], -v[3:4], v[5:6], 0.5
	v_fma_f64 v[5:6], v[5:6], v[7:8], v[5:6]
	v_fma_f64 v[3:4], v[3:4], v[7:8], v[3:4]
	v_fma_f64 v[7:8], -v[5:6], v[5:6], v[1:2]
	v_fma_f64 v[5:6], v[7:8], v[3:4], v[5:6]
	v_fma_f64 v[7:8], -v[5:6], v[5:6], v[1:2]
	v_fma_f64 v[3:4], v[7:8], v[3:4], v[5:6]
	v_mov_b32_e32 v5, 0xffffff80
	v_mov_b32_e32 v6, 0x260
	v_cndmask_b32_e64 v5, 0, v5, s[0:1]
	v_cmp_class_f64_e64 s[0:1], v[1:2], v6
	v_ldexp_f64 v[3:4], v[3:4], v5
	v_cndmask_b32_e64 v2, v4, v2, s[0:1]
	v_cndmask_b32_e64 v1, v3, v1, s[0:1]
	v_add_f64 v[1:2], v[1:2], -1.0
	v_cvt_i32_f64_e32 v1, v[1:2]
	v_lshrrev_b32_e32 v2, 31, v1
	v_add_u32_e32 v1, v1, v2
	v_ashrrev_i32_e32 v4, 1, v1
	v_add_u32_e32 v1, 1, v4
	v_mad_i64_i32 v[2:3], s[0:1], v1, v4, 0
	s_add_i32 s0, s27, -1
	v_sub_u32_e32 v1, s0, v4
	v_alignbit_b32 v2, v3, v2, 1
	v_sub_u32_e32 v2, v0, v2
	v_sub_u32_e32 v0, s0, v2
	v_cndmask_b32_e32 v1, v1, v4, vcc
	v_cndmask_b32_e32 v0, v0, v2, vcc
	v_cmp_le_i32_e32 vcc, v4, v2
	s_and_saveexec_b64 s[0:1], vcc
	s_xor_b64 s[0:1], exec, s[0:1]
	s_cbranch_execz .LBB6_6
; %bb.3:
	v_cmp_eq_u32_e32 vcc, v0, v1
	s_and_saveexec_b64 s[2:3], vcc
	s_cbranch_execz .LBB6_5
; %bb.4:
	v_mad_i64_i32 v[1:2], s[14:15], v0, s11, 0
	v_mov_b32_e32 v3, s5
	v_mad_i64_i32 v[6:7], s[14:15], v0, s12, 0
	v_lshlrev_b64 v[1:2], 4, v[1:2]
	v_mad_i64_i32 v[10:11], s[14:15], v0, s7, 0
	v_add_co_u32_e32 v1, vcc, s4, v1
	v_addc_co_u32_e32 v2, vcc, v3, v2, vcc
	flat_load_dwordx4 v[2:5], v[1:2]
	v_lshlrev_b64 v[6:7], 4, v[6:7]
	v_mov_b32_e32 v1, s13
	v_add_co_u32_e32 v6, vcc, s9, v6
	v_addc_co_u32_e32 v7, vcc, v1, v7, vcc
	flat_load_dwordx4 v[6:9], v[6:7]
	v_lshlrev_b64 v[10:11], 4, v[10:11]
	v_ashrrev_i32_e32 v1, 31, v0
	v_mov_b32_e32 v12, s10
	v_lshlrev_b64 v[0:1], 4, v[0:1]
	v_add_co_u32_e32 v10, vcc, s6, v10
	v_addc_co_u32_e32 v11, vcc, v12, v11, vcc
	v_add_co_u32_e32 v10, vcc, v10, v0
	v_addc_co_u32_e32 v11, vcc, v11, v1, vcc
	flat_load_dwordx2 v[0:1], v[10:11]
	s_waitcnt vmcnt(0) lgkmcnt(0)
	v_mul_f64 v[12:13], s[16:17], v[4:5]
	v_mul_f64 v[14:15], s[18:19], v[4:5]
	v_fma_f64 v[12:13], s[18:19], v[2:3], v[12:13]
	v_fma_f64 v[14:15], s[16:17], v[2:3], -v[14:15]
	v_mul_f64 v[16:17], v[8:9], v[12:13]
	v_mul_f64 v[18:19], v[8:9], v[14:15]
	v_fma_f64 v[14:15], v[6:7], v[14:15], v[16:17]
	v_mul_f64 v[16:17], s[18:19], v[6:7]
	v_fma_f64 v[12:13], v[6:7], v[12:13], -v[18:19]
	v_mul_f64 v[18:19], s[18:19], v[8:9]
	v_add_f64 v[0:1], v[0:1], v[14:15]
	v_fma_f64 v[8:9], s[16:17], v[8:9], -v[16:17]
	v_fma_f64 v[6:7], s[16:17], v[6:7], v[18:19]
	v_mul_f64 v[16:17], v[4:5], v[8:9]
	v_mul_f64 v[4:5], v[4:5], v[6:7]
	v_fma_f64 v[6:7], v[2:3], v[6:7], v[16:17]
	v_fma_f64 v[2:3], v[2:3], v[8:9], -v[4:5]
	v_add_f64 v[0:1], v[0:1], v[6:7]
	v_add_f64 v[2:3], v[12:13], v[2:3]
	flat_store_dwordx4 v[10:11], v[0:3]
.LBB6_5:
	s_or_b64 exec, exec, s[2:3]
                                        ; implicit-def: $vgpr0
                                        ; implicit-def: $vgpr1
.LBB6_6:
	s_andn2_saveexec_b64 s[0:1], s[0:1]
	s_cbranch_execz .LBB6_8
; %bb.7:
	v_mad_i64_i32 v[2:3], s[0:1], v0, s11, 0
	v_mov_b32_e32 v4, s5
	v_mad_i64_i32 v[6:7], s[0:1], v0, s12, 0
	v_lshlrev_b64 v[2:3], 4, v[2:3]
	v_mov_b32_e32 v8, s13
	v_add_co_u32_e32 v2, vcc, s4, v2
	v_addc_co_u32_e32 v3, vcc, v4, v3, vcc
	flat_load_dwordx4 v[2:5], v[2:3]
	v_lshlrev_b64 v[6:7], 4, v[6:7]
	v_mad_i64_i32 v[10:11], s[0:1], v1, s12, 0
	v_add_co_u32_e32 v6, vcc, s9, v6
	v_addc_co_u32_e32 v7, vcc, v8, v7, vcc
	flat_load_dwordx4 v[6:9], v[6:7]
	v_lshlrev_b64 v[10:11], 4, v[10:11]
	v_mov_b32_e32 v12, s13
	v_add_co_u32_e32 v10, vcc, s9, v10
	v_addc_co_u32_e32 v11, vcc, v12, v11, vcc
	flat_load_dwordx4 v[10:13], v[10:11]
	v_mad_i64_i32 v[14:15], s[0:1], v1, s11, 0
	v_mov_b32_e32 v16, s5
	v_mov_b32_e32 v18, s10
	v_lshlrev_b64 v[14:15], 4, v[14:15]
	v_add_co_u32_e32 v14, vcc, s4, v14
	v_addc_co_u32_e32 v15, vcc, v16, v15, vcc
	v_mad_i64_i32 v[16:17], s[0:1], v1, s7, 0
	v_ashrrev_i32_e32 v1, 31, v0
	v_lshlrev_b64 v[0:1], 4, v[0:1]
	v_lshlrev_b64 v[16:17], 4, v[16:17]
	v_add_co_u32_e32 v16, vcc, s6, v16
	v_addc_co_u32_e32 v17, vcc, v18, v17, vcc
	v_add_co_u32_e32 v16, vcc, v16, v0
	v_addc_co_u32_e32 v17, vcc, v17, v1, vcc
	s_waitcnt vmcnt(0) lgkmcnt(0)
	v_mul_f64 v[0:1], s[18:19], v[4:5]
	v_mul_f64 v[4:5], s[16:17], v[4:5]
	v_fma_f64 v[18:19], s[16:17], v[2:3], -v[0:1]
	v_fma_f64 v[4:5], s[18:19], v[2:3], v[4:5]
	v_mul_f64 v[0:1], s[18:19], v[8:9]
	v_mul_f64 v[2:3], s[18:19], v[6:7]
	v_fma_f64 v[20:21], s[16:17], v[6:7], v[0:1]
	v_fma_f64 v[8:9], s[16:17], v[8:9], -v[2:3]
	flat_load_dwordx4 v[0:3], v[14:15]
	v_mul_f64 v[6:7], v[12:13], v[4:5]
	v_fma_f64 v[14:15], v[10:11], v[18:19], v[6:7]
	v_mul_f64 v[6:7], v[12:13], v[18:19]
	v_fma_f64 v[10:11], v[10:11], v[4:5], -v[6:7]
	flat_load_dwordx4 v[4:7], v[16:17]
	s_waitcnt vmcnt(0) lgkmcnt(0)
	v_mul_f64 v[12:13], v[2:3], v[8:9]
	v_mul_f64 v[2:3], v[2:3], v[20:21]
	v_fma_f64 v[12:13], v[0:1], v[20:21], v[12:13]
	v_fma_f64 v[0:1], v[0:1], v[8:9], -v[2:3]
	v_add_f64 v[2:3], v[14:15], v[12:13]
	v_add_f64 v[8:9], v[10:11], v[0:1]
	;; [unrolled: 1-line block ×4, first 2 shown]
	flat_store_dwordx4 v[16:17], v[0:3]
.LBB6_8:
	s_endpgm
	.section	.rodata,"a",@progbits
	.p2align	6, 0x0
	.amdhsa_kernel _ZL19rocblas_her2_kernelIiLi512EPK19rocblas_complex_numIdEPKS3_PKPS1_EvbimT1_T2_lT_lSA_lSB_lT3_lSB_li
		.amdhsa_group_segment_fixed_size 0
		.amdhsa_private_segment_fixed_size 0
		.amdhsa_kernarg_size 384
		.amdhsa_user_sgpr_count 6
		.amdhsa_user_sgpr_private_segment_buffer 1
		.amdhsa_user_sgpr_dispatch_ptr 0
		.amdhsa_user_sgpr_queue_ptr 0
		.amdhsa_user_sgpr_kernarg_segment_ptr 1
		.amdhsa_user_sgpr_dispatch_id 0
		.amdhsa_user_sgpr_flat_scratch_init 0
		.amdhsa_user_sgpr_private_segment_size 0
		.amdhsa_uses_dynamic_stack 0
		.amdhsa_system_sgpr_private_segment_wavefront_offset 0
		.amdhsa_system_sgpr_workgroup_id_x 1
		.amdhsa_system_sgpr_workgroup_id_y 0
		.amdhsa_system_sgpr_workgroup_id_z 1
		.amdhsa_system_sgpr_workgroup_info 0
		.amdhsa_system_vgpr_workitem_id 0
		.amdhsa_next_free_vgpr 22
		.amdhsa_next_free_sgpr 28
		.amdhsa_reserve_vcc 1
		.amdhsa_reserve_flat_scratch 0
		.amdhsa_float_round_mode_32 0
		.amdhsa_float_round_mode_16_64 0
		.amdhsa_float_denorm_mode_32 3
		.amdhsa_float_denorm_mode_16_64 3
		.amdhsa_dx10_clamp 1
		.amdhsa_ieee_mode 1
		.amdhsa_fp16_overflow 0
		.amdhsa_exception_fp_ieee_invalid_op 0
		.amdhsa_exception_fp_denorm_src 0
		.amdhsa_exception_fp_ieee_div_zero 0
		.amdhsa_exception_fp_ieee_overflow 0
		.amdhsa_exception_fp_ieee_underflow 0
		.amdhsa_exception_fp_ieee_inexact 0
		.amdhsa_exception_int_div_zero 0
	.end_amdhsa_kernel
	.section	.text._ZL19rocblas_her2_kernelIiLi512EPK19rocblas_complex_numIdEPKS3_PKPS1_EvbimT1_T2_lT_lSA_lSB_lT3_lSB_li,"axG",@progbits,_ZL19rocblas_her2_kernelIiLi512EPK19rocblas_complex_numIdEPKS3_PKPS1_EvbimT1_T2_lT_lSA_lSB_lT3_lSB_li,comdat
.Lfunc_end6:
	.size	_ZL19rocblas_her2_kernelIiLi512EPK19rocblas_complex_numIdEPKS3_PKPS1_EvbimT1_T2_lT_lSA_lSB_lT3_lSB_li, .Lfunc_end6-_ZL19rocblas_her2_kernelIiLi512EPK19rocblas_complex_numIdEPKS3_PKPS1_EvbimT1_T2_lT_lSA_lSB_lT3_lSB_li
                                        ; -- End function
	.set _ZL19rocblas_her2_kernelIiLi512EPK19rocblas_complex_numIdEPKS3_PKPS1_EvbimT1_T2_lT_lSA_lSB_lT3_lSB_li.num_vgpr, 22
	.set _ZL19rocblas_her2_kernelIiLi512EPK19rocblas_complex_numIdEPKS3_PKPS1_EvbimT1_T2_lT_lSA_lSB_lT3_lSB_li.num_agpr, 0
	.set _ZL19rocblas_her2_kernelIiLi512EPK19rocblas_complex_numIdEPKS3_PKPS1_EvbimT1_T2_lT_lSA_lSB_lT3_lSB_li.numbered_sgpr, 28
	.set _ZL19rocblas_her2_kernelIiLi512EPK19rocblas_complex_numIdEPKS3_PKPS1_EvbimT1_T2_lT_lSA_lSB_lT3_lSB_li.num_named_barrier, 0
	.set _ZL19rocblas_her2_kernelIiLi512EPK19rocblas_complex_numIdEPKS3_PKPS1_EvbimT1_T2_lT_lSA_lSB_lT3_lSB_li.private_seg_size, 0
	.set _ZL19rocblas_her2_kernelIiLi512EPK19rocblas_complex_numIdEPKS3_PKPS1_EvbimT1_T2_lT_lSA_lSB_lT3_lSB_li.uses_vcc, 1
	.set _ZL19rocblas_her2_kernelIiLi512EPK19rocblas_complex_numIdEPKS3_PKPS1_EvbimT1_T2_lT_lSA_lSB_lT3_lSB_li.uses_flat_scratch, 0
	.set _ZL19rocblas_her2_kernelIiLi512EPK19rocblas_complex_numIdEPKS3_PKPS1_EvbimT1_T2_lT_lSA_lSB_lT3_lSB_li.has_dyn_sized_stack, 0
	.set _ZL19rocblas_her2_kernelIiLi512EPK19rocblas_complex_numIdEPKS3_PKPS1_EvbimT1_T2_lT_lSA_lSB_lT3_lSB_li.has_recursion, 0
	.set _ZL19rocblas_her2_kernelIiLi512EPK19rocblas_complex_numIdEPKS3_PKPS1_EvbimT1_T2_lT_lSA_lSB_lT3_lSB_li.has_indirect_call, 0
	.section	.AMDGPU.csdata,"",@progbits
; Kernel info:
; codeLenInByte = 1284
; TotalNumSgprs: 32
; NumVgprs: 22
; ScratchSize: 0
; MemoryBound: 0
; FloatMode: 240
; IeeeMode: 1
; LDSByteSize: 0 bytes/workgroup (compile time only)
; SGPRBlocks: 3
; VGPRBlocks: 5
; NumSGPRsForWavesPerEU: 32
; NumVGPRsForWavesPerEU: 22
; Occupancy: 10
; WaveLimiterHint : 1
; COMPUTE_PGM_RSRC2:SCRATCH_EN: 0
; COMPUTE_PGM_RSRC2:USER_SGPR: 6
; COMPUTE_PGM_RSRC2:TRAP_HANDLER: 0
; COMPUTE_PGM_RSRC2:TGID_X_EN: 1
; COMPUTE_PGM_RSRC2:TGID_Y_EN: 0
; COMPUTE_PGM_RSRC2:TGID_Z_EN: 1
; COMPUTE_PGM_RSRC2:TIDIG_COMP_CNT: 0
	.section	.text._ZL19rocblas_her2_kernelIiLi512E19rocblas_complex_numIdEPKPKS1_PKPS1_EvbimT1_T2_lT_lSA_lSB_lT3_lSB_li,"axG",@progbits,_ZL19rocblas_her2_kernelIiLi512E19rocblas_complex_numIdEPKPKS1_PKPS1_EvbimT1_T2_lT_lSA_lSB_lT3_lSB_li,comdat
	.globl	_ZL19rocblas_her2_kernelIiLi512E19rocblas_complex_numIdEPKPKS1_PKPS1_EvbimT1_T2_lT_lSA_lSB_lT3_lSB_li ; -- Begin function _ZL19rocblas_her2_kernelIiLi512E19rocblas_complex_numIdEPKPKS1_PKPS1_EvbimT1_T2_lT_lSA_lSB_lT3_lSB_li
	.p2align	8
	.type	_ZL19rocblas_her2_kernelIiLi512E19rocblas_complex_numIdEPKPKS1_PKPS1_EvbimT1_T2_lT_lSA_lSB_lT3_lSB_li,@function
_ZL19rocblas_her2_kernelIiLi512E19rocblas_complex_numIdEPKPKS1_PKPS1_EvbimT1_T2_lT_lSA_lSB_lT3_lSB_li: ; @_ZL19rocblas_her2_kernelIiLi512E19rocblas_complex_numIdEPKPKS1_PKPS1_EvbimT1_T2_lT_lSA_lSB_lT3_lSB_li
; %bb.0:
	s_load_dwordx8 s[8:15], s[4:5], 0x8
	s_waitcnt lgkmcnt(0)
	v_cmp_neq_f64_e64 s[2:3], s[10:11], 0
	v_cmp_neq_f64_e64 s[16:17], s[12:13], 0
	s_or_b64 s[2:3], s[2:3], s[16:17]
	s_andn2_b64 vcc, exec, s[2:3]
	s_cbranch_vccnz .LBB7_8
; %bb.1:
	s_load_dword s1, s[4:5], 0x94
	v_mov_b32_e32 v1, 0
	v_mov_b32_e32 v2, s6
	s_mov_b32 s0, s7
	s_waitcnt lgkmcnt(0)
	s_and_b32 s1, s1, 0xffff
	v_mad_u64_u32 v[0:1], s[2:3], s1, v2, v[0:1]
	s_load_dwordx2 s[2:3], s[4:5], 0x28
	v_cmp_gt_u64_e32 vcc, s[8:9], v[0:1]
	s_and_saveexec_b64 s[6:7], vcc
	s_cbranch_execz .LBB7_8
; %bb.2:
	s_load_dwordx4 s[16:19], s[4:5], 0x60
	s_load_dword s7, s[4:5], 0x70
	s_mov_b32 s1, 0
	s_lshl_b64 s[0:1], s[0:1], 3
	v_not_b32_e32 v3, v0
	s_waitcnt lgkmcnt(0)
	s_add_u32 s16, s16, s0
	s_addc_u32 s17, s17, s1
	s_load_dwordx2 s[16:17], s[16:17], 0x0
	s_lshl_b64 s[18:19], s[18:19], 4
	v_mov_b32_e32 v4, s9
	v_not_b32_e32 v2, v1
	v_add_co_u32_e32 v3, vcc, s8, v3
	s_waitcnt lgkmcnt(0)
	s_add_u32 s6, s16, s18
	s_addc_u32 s16, s17, s19
	s_add_u32 s18, s14, s0
	s_addc_u32 s19, s15, s1
	s_load_dwordx2 s[24:25], s[18:19], 0x0
	s_load_dwordx2 s[26:27], s[4:5], 0x0
	s_load_dword s14, s[4:5], 0x30
	s_load_dwordx4 s[20:23], s[4:5], 0x40
	s_load_dword s15, s[4:5], 0x50
	s_lshl_b64 s[2:3], s[2:3], 4
	s_waitcnt lgkmcnt(0)
	s_add_u32 s4, s24, s2
	s_addc_u32 s5, s25, s3
	s_add_u32 s0, s20, s0
	s_addc_u32 s1, s21, s1
	s_load_dwordx2 s[0:1], s[0:1], 0x0
	s_lshl_b64 s[2:3], s[22:23], 4
	v_addc_co_u32_e32 v2, vcc, v4, v2, vcc
	s_waitcnt lgkmcnt(0)
	s_add_u32 s9, s0, s2
	s_addc_u32 s17, s1, s3
	s_bitcmp1_b32 s26, 0
	s_cselect_b64 vcc, -1, 0
	v_cndmask_b32_e32 v1, v2, v1, vcc
	v_cndmask_b32_e32 v0, v3, v0, vcc
	v_lshlrev_b64 v[1:2], 3, v[0:1]
	s_mov_b32 s0, 0
	v_cvt_f64_u32_e32 v[2:3], v2
	v_or_b32_e32 v1, 1, v1
	v_cvt_f64_u32_e32 v[4:5], v1
	s_brev_b32 s1, 8
	v_ldexp_f64 v[2:3], v[2:3], 32
	v_add_f64 v[1:2], v[2:3], v[4:5]
	v_mov_b32_e32 v3, 0x100
	v_cmp_gt_f64_e64 s[0:1], s[0:1], v[1:2]
	v_cndmask_b32_e64 v3, 0, v3, s[0:1]
	v_ldexp_f64 v[1:2], v[1:2], v3
	v_rsq_f64_e32 v[3:4], v[1:2]
	v_mul_f64 v[5:6], v[1:2], v[3:4]
	v_mul_f64 v[3:4], v[3:4], 0.5
	v_fma_f64 v[7:8], -v[3:4], v[5:6], 0.5
	v_fma_f64 v[5:6], v[5:6], v[7:8], v[5:6]
	v_fma_f64 v[3:4], v[3:4], v[7:8], v[3:4]
	v_fma_f64 v[7:8], -v[5:6], v[5:6], v[1:2]
	v_fma_f64 v[5:6], v[7:8], v[3:4], v[5:6]
	v_fma_f64 v[7:8], -v[5:6], v[5:6], v[1:2]
	v_fma_f64 v[3:4], v[7:8], v[3:4], v[5:6]
	v_mov_b32_e32 v5, 0xffffff80
	v_mov_b32_e32 v6, 0x260
	v_cndmask_b32_e64 v5, 0, v5, s[0:1]
	v_cmp_class_f64_e64 s[0:1], v[1:2], v6
	v_ldexp_f64 v[3:4], v[3:4], v5
	v_cndmask_b32_e64 v2, v4, v2, s[0:1]
	v_cndmask_b32_e64 v1, v3, v1, s[0:1]
	v_add_f64 v[1:2], v[1:2], -1.0
	v_cvt_i32_f64_e32 v1, v[1:2]
	v_lshrrev_b32_e32 v2, 31, v1
	v_add_u32_e32 v1, v1, v2
	v_ashrrev_i32_e32 v4, 1, v1
	v_add_u32_e32 v1, 1, v4
	v_mad_i64_i32 v[2:3], s[0:1], v1, v4, 0
	s_add_i32 s0, s27, -1
	v_sub_u32_e32 v1, s0, v4
	v_alignbit_b32 v2, v3, v2, 1
	v_sub_u32_e32 v2, v0, v2
	v_sub_u32_e32 v0, s0, v2
	v_cndmask_b32_e32 v1, v1, v4, vcc
	v_cndmask_b32_e32 v0, v0, v2, vcc
	v_cmp_le_i32_e32 vcc, v4, v2
	s_and_saveexec_b64 s[0:1], vcc
	s_xor_b64 s[0:1], exec, s[0:1]
	s_cbranch_execz .LBB7_6
; %bb.3:
	v_cmp_eq_u32_e32 vcc, v0, v1
	s_and_saveexec_b64 s[2:3], vcc
	s_cbranch_execz .LBB7_5
; %bb.4:
	v_mad_i64_i32 v[1:2], s[18:19], v0, s14, 0
	v_mov_b32_e32 v3, s5
	v_mad_i64_i32 v[6:7], s[18:19], v0, s15, 0
	v_lshlrev_b64 v[1:2], 4, v[1:2]
	v_mad_i64_i32 v[10:11], s[18:19], v0, s7, 0
	v_add_co_u32_e32 v1, vcc, s4, v1
	v_addc_co_u32_e32 v2, vcc, v3, v2, vcc
	flat_load_dwordx4 v[2:5], v[1:2]
	v_lshlrev_b64 v[6:7], 4, v[6:7]
	v_mov_b32_e32 v1, s17
	v_add_co_u32_e32 v6, vcc, s9, v6
	v_addc_co_u32_e32 v7, vcc, v1, v7, vcc
	flat_load_dwordx4 v[6:9], v[6:7]
	v_lshlrev_b64 v[10:11], 4, v[10:11]
	v_ashrrev_i32_e32 v1, 31, v0
	v_mov_b32_e32 v12, s16
	v_lshlrev_b64 v[0:1], 4, v[0:1]
	v_add_co_u32_e32 v10, vcc, s6, v10
	v_addc_co_u32_e32 v11, vcc, v12, v11, vcc
	v_add_co_u32_e32 v10, vcc, v10, v0
	v_addc_co_u32_e32 v11, vcc, v11, v1, vcc
	flat_load_dwordx2 v[0:1], v[10:11]
	s_waitcnt vmcnt(0) lgkmcnt(0)
	v_mul_f64 v[12:13], s[10:11], v[4:5]
	v_mul_f64 v[14:15], s[12:13], v[4:5]
	v_fma_f64 v[12:13], s[12:13], v[2:3], v[12:13]
	v_fma_f64 v[14:15], s[10:11], v[2:3], -v[14:15]
	v_mul_f64 v[16:17], v[8:9], v[12:13]
	v_mul_f64 v[18:19], v[8:9], v[14:15]
	v_fma_f64 v[14:15], v[6:7], v[14:15], v[16:17]
	v_mul_f64 v[16:17], s[12:13], v[6:7]
	v_fma_f64 v[12:13], v[6:7], v[12:13], -v[18:19]
	v_mul_f64 v[18:19], s[12:13], v[8:9]
	v_add_f64 v[0:1], v[0:1], v[14:15]
	v_fma_f64 v[8:9], s[10:11], v[8:9], -v[16:17]
	v_fma_f64 v[6:7], s[10:11], v[6:7], v[18:19]
	v_mul_f64 v[16:17], v[4:5], v[8:9]
	v_mul_f64 v[4:5], v[4:5], v[6:7]
	v_fma_f64 v[6:7], v[2:3], v[6:7], v[16:17]
	v_fma_f64 v[2:3], v[2:3], v[8:9], -v[4:5]
	v_add_f64 v[0:1], v[0:1], v[6:7]
	v_add_f64 v[2:3], v[12:13], v[2:3]
	flat_store_dwordx4 v[10:11], v[0:3]
.LBB7_5:
	s_or_b64 exec, exec, s[2:3]
                                        ; implicit-def: $vgpr0
                                        ; implicit-def: $vgpr1
.LBB7_6:
	s_andn2_saveexec_b64 s[0:1], s[0:1]
	s_cbranch_execz .LBB7_8
; %bb.7:
	v_mad_i64_i32 v[2:3], s[0:1], v0, s14, 0
	v_mov_b32_e32 v4, s5
	v_mad_i64_i32 v[6:7], s[0:1], v0, s15, 0
	v_lshlrev_b64 v[2:3], 4, v[2:3]
	v_mov_b32_e32 v8, s17
	v_add_co_u32_e32 v2, vcc, s4, v2
	v_addc_co_u32_e32 v3, vcc, v4, v3, vcc
	flat_load_dwordx4 v[2:5], v[2:3]
	v_lshlrev_b64 v[6:7], 4, v[6:7]
	v_mad_i64_i32 v[10:11], s[0:1], v1, s15, 0
	v_add_co_u32_e32 v6, vcc, s9, v6
	v_addc_co_u32_e32 v7, vcc, v8, v7, vcc
	flat_load_dwordx4 v[6:9], v[6:7]
	v_lshlrev_b64 v[10:11], 4, v[10:11]
	v_mov_b32_e32 v12, s17
	v_add_co_u32_e32 v10, vcc, s9, v10
	v_addc_co_u32_e32 v11, vcc, v12, v11, vcc
	flat_load_dwordx4 v[10:13], v[10:11]
	v_mad_i64_i32 v[14:15], s[0:1], v1, s14, 0
	v_mov_b32_e32 v16, s5
	v_mov_b32_e32 v18, s16
	v_lshlrev_b64 v[14:15], 4, v[14:15]
	v_add_co_u32_e32 v14, vcc, s4, v14
	v_addc_co_u32_e32 v15, vcc, v16, v15, vcc
	v_mad_i64_i32 v[16:17], s[0:1], v1, s7, 0
	v_ashrrev_i32_e32 v1, 31, v0
	v_lshlrev_b64 v[0:1], 4, v[0:1]
	v_lshlrev_b64 v[16:17], 4, v[16:17]
	v_add_co_u32_e32 v16, vcc, s6, v16
	v_addc_co_u32_e32 v17, vcc, v18, v17, vcc
	v_add_co_u32_e32 v16, vcc, v16, v0
	v_addc_co_u32_e32 v17, vcc, v17, v1, vcc
	s_waitcnt vmcnt(0) lgkmcnt(0)
	v_mul_f64 v[0:1], s[12:13], v[4:5]
	v_mul_f64 v[4:5], s[10:11], v[4:5]
	v_fma_f64 v[18:19], s[10:11], v[2:3], -v[0:1]
	v_fma_f64 v[4:5], s[12:13], v[2:3], v[4:5]
	v_mul_f64 v[0:1], s[12:13], v[8:9]
	v_mul_f64 v[2:3], s[12:13], v[6:7]
	v_fma_f64 v[20:21], s[10:11], v[6:7], v[0:1]
	v_fma_f64 v[8:9], s[10:11], v[8:9], -v[2:3]
	flat_load_dwordx4 v[0:3], v[14:15]
	v_mul_f64 v[6:7], v[12:13], v[4:5]
	v_fma_f64 v[14:15], v[10:11], v[18:19], v[6:7]
	v_mul_f64 v[6:7], v[12:13], v[18:19]
	v_fma_f64 v[10:11], v[10:11], v[4:5], -v[6:7]
	flat_load_dwordx4 v[4:7], v[16:17]
	s_waitcnt vmcnt(0) lgkmcnt(0)
	v_mul_f64 v[12:13], v[2:3], v[8:9]
	v_mul_f64 v[2:3], v[2:3], v[20:21]
	v_fma_f64 v[12:13], v[0:1], v[20:21], v[12:13]
	v_fma_f64 v[0:1], v[0:1], v[8:9], -v[2:3]
	v_add_f64 v[2:3], v[14:15], v[12:13]
	v_add_f64 v[8:9], v[10:11], v[0:1]
	;; [unrolled: 1-line block ×4, first 2 shown]
	flat_store_dwordx4 v[16:17], v[0:3]
.LBB7_8:
	s_endpgm
	.section	.rodata,"a",@progbits
	.p2align	6, 0x0
	.amdhsa_kernel _ZL19rocblas_her2_kernelIiLi512E19rocblas_complex_numIdEPKPKS1_PKPS1_EvbimT1_T2_lT_lSA_lSB_lT3_lSB_li
		.amdhsa_group_segment_fixed_size 0
		.amdhsa_private_segment_fixed_size 0
		.amdhsa_kernarg_size 392
		.amdhsa_user_sgpr_count 6
		.amdhsa_user_sgpr_private_segment_buffer 1
		.amdhsa_user_sgpr_dispatch_ptr 0
		.amdhsa_user_sgpr_queue_ptr 0
		.amdhsa_user_sgpr_kernarg_segment_ptr 1
		.amdhsa_user_sgpr_dispatch_id 0
		.amdhsa_user_sgpr_flat_scratch_init 0
		.amdhsa_user_sgpr_private_segment_size 0
		.amdhsa_uses_dynamic_stack 0
		.amdhsa_system_sgpr_private_segment_wavefront_offset 0
		.amdhsa_system_sgpr_workgroup_id_x 1
		.amdhsa_system_sgpr_workgroup_id_y 0
		.amdhsa_system_sgpr_workgroup_id_z 1
		.amdhsa_system_sgpr_workgroup_info 0
		.amdhsa_system_vgpr_workitem_id 0
		.amdhsa_next_free_vgpr 22
		.amdhsa_next_free_sgpr 28
		.amdhsa_reserve_vcc 1
		.amdhsa_reserve_flat_scratch 0
		.amdhsa_float_round_mode_32 0
		.amdhsa_float_round_mode_16_64 0
		.amdhsa_float_denorm_mode_32 3
		.amdhsa_float_denorm_mode_16_64 3
		.amdhsa_dx10_clamp 1
		.amdhsa_ieee_mode 1
		.amdhsa_fp16_overflow 0
		.amdhsa_exception_fp_ieee_invalid_op 0
		.amdhsa_exception_fp_denorm_src 0
		.amdhsa_exception_fp_ieee_div_zero 0
		.amdhsa_exception_fp_ieee_overflow 0
		.amdhsa_exception_fp_ieee_underflow 0
		.amdhsa_exception_fp_ieee_inexact 0
		.amdhsa_exception_int_div_zero 0
	.end_amdhsa_kernel
	.section	.text._ZL19rocblas_her2_kernelIiLi512E19rocblas_complex_numIdEPKPKS1_PKPS1_EvbimT1_T2_lT_lSA_lSB_lT3_lSB_li,"axG",@progbits,_ZL19rocblas_her2_kernelIiLi512E19rocblas_complex_numIdEPKPKS1_PKPS1_EvbimT1_T2_lT_lSA_lSB_lT3_lSB_li,comdat
.Lfunc_end7:
	.size	_ZL19rocblas_her2_kernelIiLi512E19rocblas_complex_numIdEPKPKS1_PKPS1_EvbimT1_T2_lT_lSA_lSB_lT3_lSB_li, .Lfunc_end7-_ZL19rocblas_her2_kernelIiLi512E19rocblas_complex_numIdEPKPKS1_PKPS1_EvbimT1_T2_lT_lSA_lSB_lT3_lSB_li
                                        ; -- End function
	.set _ZL19rocblas_her2_kernelIiLi512E19rocblas_complex_numIdEPKPKS1_PKPS1_EvbimT1_T2_lT_lSA_lSB_lT3_lSB_li.num_vgpr, 22
	.set _ZL19rocblas_her2_kernelIiLi512E19rocblas_complex_numIdEPKPKS1_PKPS1_EvbimT1_T2_lT_lSA_lSB_lT3_lSB_li.num_agpr, 0
	.set _ZL19rocblas_her2_kernelIiLi512E19rocblas_complex_numIdEPKPKS1_PKPS1_EvbimT1_T2_lT_lSA_lSB_lT3_lSB_li.numbered_sgpr, 28
	.set _ZL19rocblas_her2_kernelIiLi512E19rocblas_complex_numIdEPKPKS1_PKPS1_EvbimT1_T2_lT_lSA_lSB_lT3_lSB_li.num_named_barrier, 0
	.set _ZL19rocblas_her2_kernelIiLi512E19rocblas_complex_numIdEPKPKS1_PKPS1_EvbimT1_T2_lT_lSA_lSB_lT3_lSB_li.private_seg_size, 0
	.set _ZL19rocblas_her2_kernelIiLi512E19rocblas_complex_numIdEPKPKS1_PKPS1_EvbimT1_T2_lT_lSA_lSB_lT3_lSB_li.uses_vcc, 1
	.set _ZL19rocblas_her2_kernelIiLi512E19rocblas_complex_numIdEPKPKS1_PKPS1_EvbimT1_T2_lT_lSA_lSB_lT3_lSB_li.uses_flat_scratch, 0
	.set _ZL19rocblas_her2_kernelIiLi512E19rocblas_complex_numIdEPKPKS1_PKPS1_EvbimT1_T2_lT_lSA_lSB_lT3_lSB_li.has_dyn_sized_stack, 0
	.set _ZL19rocblas_her2_kernelIiLi512E19rocblas_complex_numIdEPKPKS1_PKPS1_EvbimT1_T2_lT_lSA_lSB_lT3_lSB_li.has_recursion, 0
	.set _ZL19rocblas_her2_kernelIiLi512E19rocblas_complex_numIdEPKPKS1_PKPS1_EvbimT1_T2_lT_lSA_lSB_lT3_lSB_li.has_indirect_call, 0
	.section	.AMDGPU.csdata,"",@progbits
; Kernel info:
; codeLenInByte = 1280
; TotalNumSgprs: 32
; NumVgprs: 22
; ScratchSize: 0
; MemoryBound: 0
; FloatMode: 240
; IeeeMode: 1
; LDSByteSize: 0 bytes/workgroup (compile time only)
; SGPRBlocks: 3
; VGPRBlocks: 5
; NumSGPRsForWavesPerEU: 32
; NumVGPRsForWavesPerEU: 22
; Occupancy: 10
; WaveLimiterHint : 1
; COMPUTE_PGM_RSRC2:SCRATCH_EN: 0
; COMPUTE_PGM_RSRC2:USER_SGPR: 6
; COMPUTE_PGM_RSRC2:TRAP_HANDLER: 0
; COMPUTE_PGM_RSRC2:TGID_X_EN: 1
; COMPUTE_PGM_RSRC2:TGID_Y_EN: 0
; COMPUTE_PGM_RSRC2:TGID_Z_EN: 1
; COMPUTE_PGM_RSRC2:TIDIG_COMP_CNT: 0
	.section	.AMDGPU.gpr_maximums,"",@progbits
	.set amdgpu.max_num_vgpr, 0
	.set amdgpu.max_num_agpr, 0
	.set amdgpu.max_num_sgpr, 0
	.section	.AMDGPU.csdata,"",@progbits
	.type	__hip_cuid_7e8dafbf34459fbf,@object ; @__hip_cuid_7e8dafbf34459fbf
	.section	.bss,"aw",@nobits
	.globl	__hip_cuid_7e8dafbf34459fbf
__hip_cuid_7e8dafbf34459fbf:
	.byte	0                               ; 0x0
	.size	__hip_cuid_7e8dafbf34459fbf, 1

	.ident	"AMD clang version 22.0.0git (https://github.com/RadeonOpenCompute/llvm-project roc-7.2.4 26084 f58b06dce1f9c15707c5f808fd002e18c2accf7e)"
	.section	".note.GNU-stack","",@progbits
	.addrsig
	.addrsig_sym __hip_cuid_7e8dafbf34459fbf
	.amdgpu_metadata
---
amdhsa.kernels:
  - .args:
      - .offset:         0
        .size:           1
        .value_kind:     by_value
      - .offset:         4
        .size:           4
        .value_kind:     by_value
      - .offset:         8
        .size:           8
        .value_kind:     by_value
      - .address_space:  global
        .offset:         16
        .size:           8
        .value_kind:     global_buffer
      - .address_space:  global
        .offset:         24
        .size:           8
        .value_kind:     global_buffer
      - .offset:         32
        .size:           8
        .value_kind:     by_value
      - .offset:         40
        .size:           4
        .value_kind:     by_value
      - .offset:         48
        .size:           8
        .value_kind:     by_value
      - .address_space:  global
        .offset:         56
        .size:           8
        .value_kind:     global_buffer
      - .offset:         64
        .size:           8
        .value_kind:     by_value
      - .offset:         72
        .size:           4
        .value_kind:     by_value
      - .offset:         80
        .size:           8
        .value_kind:     by_value
      - .address_space:  global
        .offset:         88
        .size:           8
        .value_kind:     global_buffer
      - .offset:         96
        .size:           8
        .value_kind:     by_value
      - .offset:         104
        .size:           4
        .value_kind:     by_value
      - .offset:         112
        .size:           8
        .value_kind:     by_value
      - .offset:         120
        .size:           4
        .value_kind:     by_value
      - .offset:         128
        .size:           4
        .value_kind:     hidden_block_count_x
      - .offset:         132
        .size:           4
        .value_kind:     hidden_block_count_y
      - .offset:         136
        .size:           4
        .value_kind:     hidden_block_count_z
      - .offset:         140
        .size:           2
        .value_kind:     hidden_group_size_x
      - .offset:         142
        .size:           2
        .value_kind:     hidden_group_size_y
      - .offset:         144
        .size:           2
        .value_kind:     hidden_group_size_z
      - .offset:         146
        .size:           2
        .value_kind:     hidden_remainder_x
      - .offset:         148
        .size:           2
        .value_kind:     hidden_remainder_y
      - .offset:         150
        .size:           2
        .value_kind:     hidden_remainder_z
      - .offset:         168
        .size:           8
        .value_kind:     hidden_global_offset_x
      - .offset:         176
        .size:           8
        .value_kind:     hidden_global_offset_y
      - .offset:         184
        .size:           8
        .value_kind:     hidden_global_offset_z
      - .offset:         192
        .size:           2
        .value_kind:     hidden_grid_dims
    .group_segment_fixed_size: 0
    .kernarg_segment_align: 8
    .kernarg_segment_size: 384
    .language:       OpenCL C
    .language_version:
      - 2
      - 0
    .max_flat_workgroup_size: 512
    .name:           _ZL19rocblas_her2_kernelIiLi512EPK19rocblas_complex_numIfES3_PS1_EvbimT1_T2_lT_lS6_lS7_lT3_lS7_li
    .private_segment_fixed_size: 0
    .sgpr_count:     34
    .sgpr_spill_count: 0
    .symbol:         _ZL19rocblas_her2_kernelIiLi512EPK19rocblas_complex_numIfES3_PS1_EvbimT1_T2_lT_lS6_lS7_lT3_lS7_li.kd
    .uniform_work_group_size: 1
    .uses_dynamic_stack: false
    .vgpr_count:     15
    .vgpr_spill_count: 0
    .wavefront_size: 64
  - .args:
      - .offset:         0
        .size:           1
        .value_kind:     by_value
      - .offset:         4
        .size:           4
        .value_kind:     by_value
      - .offset:         8
        .size:           8
        .value_kind:     by_value
      - .offset:         16
        .size:           8
        .value_kind:     by_value
      - .address_space:  global
        .offset:         24
        .size:           8
        .value_kind:     global_buffer
      - .offset:         32
        .size:           8
        .value_kind:     by_value
      - .offset:         40
        .size:           4
        .value_kind:     by_value
      - .offset:         48
        .size:           8
        .value_kind:     by_value
      - .address_space:  global
        .offset:         56
        .size:           8
        .value_kind:     global_buffer
      - .offset:         64
        .size:           8
        .value_kind:     by_value
      - .offset:         72
        .size:           4
        .value_kind:     by_value
      - .offset:         80
        .size:           8
        .value_kind:     by_value
      - .address_space:  global
        .offset:         88
        .size:           8
        .value_kind:     global_buffer
      - .offset:         96
        .size:           8
        .value_kind:     by_value
      - .offset:         104
        .size:           4
        .value_kind:     by_value
      - .offset:         112
        .size:           8
        .value_kind:     by_value
      - .offset:         120
        .size:           4
        .value_kind:     by_value
      - .offset:         128
        .size:           4
        .value_kind:     hidden_block_count_x
      - .offset:         132
        .size:           4
        .value_kind:     hidden_block_count_y
      - .offset:         136
        .size:           4
        .value_kind:     hidden_block_count_z
      - .offset:         140
        .size:           2
        .value_kind:     hidden_group_size_x
      - .offset:         142
        .size:           2
        .value_kind:     hidden_group_size_y
      - .offset:         144
        .size:           2
        .value_kind:     hidden_group_size_z
      - .offset:         146
        .size:           2
        .value_kind:     hidden_remainder_x
      - .offset:         148
        .size:           2
        .value_kind:     hidden_remainder_y
      - .offset:         150
        .size:           2
        .value_kind:     hidden_remainder_z
      - .offset:         168
        .size:           8
        .value_kind:     hidden_global_offset_x
      - .offset:         176
        .size:           8
        .value_kind:     hidden_global_offset_y
      - .offset:         184
        .size:           8
        .value_kind:     hidden_global_offset_z
      - .offset:         192
        .size:           2
        .value_kind:     hidden_grid_dims
    .group_segment_fixed_size: 0
    .kernarg_segment_align: 8
    .kernarg_segment_size: 384
    .language:       OpenCL C
    .language_version:
      - 2
      - 0
    .max_flat_workgroup_size: 512
    .name:           _ZL19rocblas_her2_kernelIiLi512E19rocblas_complex_numIfEPKS1_PS1_EvbimT1_T2_lT_lS6_lS7_lT3_lS7_li
    .private_segment_fixed_size: 0
    .sgpr_count:     33
    .sgpr_spill_count: 0
    .symbol:         _ZL19rocblas_her2_kernelIiLi512E19rocblas_complex_numIfEPKS1_PS1_EvbimT1_T2_lT_lS6_lS7_lT3_lS7_li.kd
    .uniform_work_group_size: 1
    .uses_dynamic_stack: false
    .vgpr_count:     15
    .vgpr_spill_count: 0
    .wavefront_size: 64
  - .args:
      - .offset:         0
        .size:           1
        .value_kind:     by_value
      - .offset:         4
        .size:           4
        .value_kind:     by_value
      - .offset:         8
        .size:           8
        .value_kind:     by_value
      - .address_space:  global
        .offset:         16
        .size:           8
        .value_kind:     global_buffer
      - .address_space:  global
        .offset:         24
        .size:           8
        .value_kind:     global_buffer
      - .offset:         32
        .size:           8
        .value_kind:     by_value
      - .offset:         40
        .size:           4
        .value_kind:     by_value
      - .offset:         48
        .size:           8
        .value_kind:     by_value
      - .address_space:  global
        .offset:         56
        .size:           8
        .value_kind:     global_buffer
      - .offset:         64
        .size:           8
        .value_kind:     by_value
      - .offset:         72
        .size:           4
        .value_kind:     by_value
      - .offset:         80
        .size:           8
        .value_kind:     by_value
      - .address_space:  global
        .offset:         88
        .size:           8
        .value_kind:     global_buffer
      - .offset:         96
        .size:           8
        .value_kind:     by_value
      - .offset:         104
        .size:           4
        .value_kind:     by_value
      - .offset:         112
        .size:           8
        .value_kind:     by_value
      - .offset:         120
        .size:           4
        .value_kind:     by_value
      - .offset:         128
        .size:           4
        .value_kind:     hidden_block_count_x
      - .offset:         132
        .size:           4
        .value_kind:     hidden_block_count_y
      - .offset:         136
        .size:           4
        .value_kind:     hidden_block_count_z
      - .offset:         140
        .size:           2
        .value_kind:     hidden_group_size_x
      - .offset:         142
        .size:           2
        .value_kind:     hidden_group_size_y
      - .offset:         144
        .size:           2
        .value_kind:     hidden_group_size_z
      - .offset:         146
        .size:           2
        .value_kind:     hidden_remainder_x
      - .offset:         148
        .size:           2
        .value_kind:     hidden_remainder_y
      - .offset:         150
        .size:           2
        .value_kind:     hidden_remainder_z
      - .offset:         168
        .size:           8
        .value_kind:     hidden_global_offset_x
      - .offset:         176
        .size:           8
        .value_kind:     hidden_global_offset_y
      - .offset:         184
        .size:           8
        .value_kind:     hidden_global_offset_z
      - .offset:         192
        .size:           2
        .value_kind:     hidden_grid_dims
    .group_segment_fixed_size: 0
    .kernarg_segment_align: 8
    .kernarg_segment_size: 384
    .language:       OpenCL C
    .language_version:
      - 2
      - 0
    .max_flat_workgroup_size: 512
    .name:           _ZL19rocblas_her2_kernelIiLi512EPK19rocblas_complex_numIdES3_PS1_EvbimT1_T2_lT_lS6_lS7_lT3_lS7_li
    .private_segment_fixed_size: 0
    .sgpr_count:     36
    .sgpr_spill_count: 0
    .symbol:         _ZL19rocblas_her2_kernelIiLi512EPK19rocblas_complex_numIdES3_PS1_EvbimT1_T2_lT_lS6_lS7_lT3_lS7_li.kd
    .uniform_work_group_size: 1
    .uses_dynamic_stack: false
    .vgpr_count:     22
    .vgpr_spill_count: 0
    .wavefront_size: 64
  - .args:
      - .offset:         0
        .size:           1
        .value_kind:     by_value
      - .offset:         4
        .size:           4
        .value_kind:     by_value
      - .offset:         8
        .size:           8
        .value_kind:     by_value
      - .offset:         16
        .size:           16
        .value_kind:     by_value
      - .address_space:  global
        .offset:         32
        .size:           8
        .value_kind:     global_buffer
      - .offset:         40
        .size:           8
        .value_kind:     by_value
      - .offset:         48
        .size:           4
        .value_kind:     by_value
      - .offset:         56
        .size:           8
        .value_kind:     by_value
      - .address_space:  global
        .offset:         64
        .size:           8
        .value_kind:     global_buffer
      - .offset:         72
        .size:           8
        .value_kind:     by_value
      - .offset:         80
        .size:           4
        .value_kind:     by_value
      - .offset:         88
        .size:           8
        .value_kind:     by_value
      - .address_space:  global
        .offset:         96
        .size:           8
        .value_kind:     global_buffer
      - .offset:         104
        .size:           8
        .value_kind:     by_value
      - .offset:         112
        .size:           4
        .value_kind:     by_value
      - .offset:         120
        .size:           8
        .value_kind:     by_value
      - .offset:         128
        .size:           4
        .value_kind:     by_value
      - .offset:         136
        .size:           4
        .value_kind:     hidden_block_count_x
      - .offset:         140
        .size:           4
        .value_kind:     hidden_block_count_y
      - .offset:         144
        .size:           4
        .value_kind:     hidden_block_count_z
      - .offset:         148
        .size:           2
        .value_kind:     hidden_group_size_x
      - .offset:         150
        .size:           2
        .value_kind:     hidden_group_size_y
      - .offset:         152
        .size:           2
        .value_kind:     hidden_group_size_z
      - .offset:         154
        .size:           2
        .value_kind:     hidden_remainder_x
      - .offset:         156
        .size:           2
        .value_kind:     hidden_remainder_y
      - .offset:         158
        .size:           2
        .value_kind:     hidden_remainder_z
      - .offset:         176
        .size:           8
        .value_kind:     hidden_global_offset_x
      - .offset:         184
        .size:           8
        .value_kind:     hidden_global_offset_y
      - .offset:         192
        .size:           8
        .value_kind:     hidden_global_offset_z
      - .offset:         200
        .size:           2
        .value_kind:     hidden_grid_dims
    .group_segment_fixed_size: 0
    .kernarg_segment_align: 8
    .kernarg_segment_size: 392
    .language:       OpenCL C
    .language_version:
      - 2
      - 0
    .max_flat_workgroup_size: 512
    .name:           _ZL19rocblas_her2_kernelIiLi512E19rocblas_complex_numIdEPKS1_PS1_EvbimT1_T2_lT_lS6_lS7_lT3_lS7_li
    .private_segment_fixed_size: 0
    .sgpr_count:     36
    .sgpr_spill_count: 0
    .symbol:         _ZL19rocblas_her2_kernelIiLi512E19rocblas_complex_numIdEPKS1_PS1_EvbimT1_T2_lT_lS6_lS7_lT3_lS7_li.kd
    .uniform_work_group_size: 1
    .uses_dynamic_stack: false
    .vgpr_count:     22
    .vgpr_spill_count: 0
    .wavefront_size: 64
  - .args:
      - .offset:         0
        .size:           1
        .value_kind:     by_value
      - .offset:         4
        .size:           4
        .value_kind:     by_value
      - .offset:         8
        .size:           8
        .value_kind:     by_value
      - .address_space:  global
        .offset:         16
        .size:           8
        .value_kind:     global_buffer
      - .address_space:  global
        .offset:         24
        .size:           8
        .value_kind:     global_buffer
      - .offset:         32
        .size:           8
        .value_kind:     by_value
      - .offset:         40
        .size:           4
        .value_kind:     by_value
      - .offset:         48
        .size:           8
        .value_kind:     by_value
      - .address_space:  global
        .offset:         56
        .size:           8
        .value_kind:     global_buffer
      - .offset:         64
        .size:           8
        .value_kind:     by_value
      - .offset:         72
        .size:           4
        .value_kind:     by_value
      - .offset:         80
        .size:           8
        .value_kind:     by_value
      - .address_space:  global
        .offset:         88
        .size:           8
        .value_kind:     global_buffer
      - .offset:         96
        .size:           8
        .value_kind:     by_value
      - .offset:         104
        .size:           4
        .value_kind:     by_value
      - .offset:         112
        .size:           8
        .value_kind:     by_value
      - .offset:         120
        .size:           4
        .value_kind:     by_value
      - .offset:         128
        .size:           4
        .value_kind:     hidden_block_count_x
      - .offset:         132
        .size:           4
        .value_kind:     hidden_block_count_y
      - .offset:         136
        .size:           4
        .value_kind:     hidden_block_count_z
      - .offset:         140
        .size:           2
        .value_kind:     hidden_group_size_x
      - .offset:         142
        .size:           2
        .value_kind:     hidden_group_size_y
      - .offset:         144
        .size:           2
        .value_kind:     hidden_group_size_z
      - .offset:         146
        .size:           2
        .value_kind:     hidden_remainder_x
      - .offset:         148
        .size:           2
        .value_kind:     hidden_remainder_y
      - .offset:         150
        .size:           2
        .value_kind:     hidden_remainder_z
      - .offset:         168
        .size:           8
        .value_kind:     hidden_global_offset_x
      - .offset:         176
        .size:           8
        .value_kind:     hidden_global_offset_y
      - .offset:         184
        .size:           8
        .value_kind:     hidden_global_offset_z
      - .offset:         192
        .size:           2
        .value_kind:     hidden_grid_dims
    .group_segment_fixed_size: 0
    .kernarg_segment_align: 8
    .kernarg_segment_size: 384
    .language:       OpenCL C
    .language_version:
      - 2
      - 0
    .max_flat_workgroup_size: 512
    .name:           _ZL19rocblas_her2_kernelIiLi512EPK19rocblas_complex_numIfEPKS3_PKPS1_EvbimT1_T2_lT_lSA_lSB_lT3_lSB_li
    .private_segment_fixed_size: 0
    .sgpr_count:     32
    .sgpr_spill_count: 0
    .symbol:         _ZL19rocblas_her2_kernelIiLi512EPK19rocblas_complex_numIfEPKS3_PKPS1_EvbimT1_T2_lT_lSA_lSB_lT3_lSB_li.kd
    .uniform_work_group_size: 1
    .uses_dynamic_stack: false
    .vgpr_count:     15
    .vgpr_spill_count: 0
    .wavefront_size: 64
  - .args:
      - .offset:         0
        .size:           1
        .value_kind:     by_value
      - .offset:         4
        .size:           4
        .value_kind:     by_value
      - .offset:         8
        .size:           8
        .value_kind:     by_value
      - .offset:         16
        .size:           8
        .value_kind:     by_value
      - .address_space:  global
        .offset:         24
        .size:           8
        .value_kind:     global_buffer
      - .offset:         32
        .size:           8
        .value_kind:     by_value
      - .offset:         40
        .size:           4
        .value_kind:     by_value
      - .offset:         48
        .size:           8
        .value_kind:     by_value
      - .address_space:  global
        .offset:         56
        .size:           8
        .value_kind:     global_buffer
      - .offset:         64
        .size:           8
        .value_kind:     by_value
      - .offset:         72
        .size:           4
        .value_kind:     by_value
      - .offset:         80
        .size:           8
        .value_kind:     by_value
      - .address_space:  global
        .offset:         88
        .size:           8
        .value_kind:     global_buffer
      - .offset:         96
        .size:           8
        .value_kind:     by_value
      - .offset:         104
        .size:           4
        .value_kind:     by_value
      - .offset:         112
        .size:           8
        .value_kind:     by_value
      - .offset:         120
        .size:           4
        .value_kind:     by_value
      - .offset:         128
        .size:           4
        .value_kind:     hidden_block_count_x
      - .offset:         132
        .size:           4
        .value_kind:     hidden_block_count_y
      - .offset:         136
        .size:           4
        .value_kind:     hidden_block_count_z
      - .offset:         140
        .size:           2
        .value_kind:     hidden_group_size_x
      - .offset:         142
        .size:           2
        .value_kind:     hidden_group_size_y
      - .offset:         144
        .size:           2
        .value_kind:     hidden_group_size_z
      - .offset:         146
        .size:           2
        .value_kind:     hidden_remainder_x
      - .offset:         148
        .size:           2
        .value_kind:     hidden_remainder_y
      - .offset:         150
        .size:           2
        .value_kind:     hidden_remainder_z
      - .offset:         168
        .size:           8
        .value_kind:     hidden_global_offset_x
      - .offset:         176
        .size:           8
        .value_kind:     hidden_global_offset_y
      - .offset:         184
        .size:           8
        .value_kind:     hidden_global_offset_z
      - .offset:         192
        .size:           2
        .value_kind:     hidden_grid_dims
    .group_segment_fixed_size: 0
    .kernarg_segment_align: 8
    .kernarg_segment_size: 384
    .language:       OpenCL C
    .language_version:
      - 2
      - 0
    .max_flat_workgroup_size: 512
    .name:           _ZL19rocblas_her2_kernelIiLi512E19rocblas_complex_numIfEPKPKS1_PKPS1_EvbimT1_T2_lT_lSA_lSB_lT3_lSB_li
    .private_segment_fixed_size: 0
    .sgpr_count:     30
    .sgpr_spill_count: 0
    .symbol:         _ZL19rocblas_her2_kernelIiLi512E19rocblas_complex_numIfEPKPKS1_PKPS1_EvbimT1_T2_lT_lSA_lSB_lT3_lSB_li.kd
    .uniform_work_group_size: 1
    .uses_dynamic_stack: false
    .vgpr_count:     15
    .vgpr_spill_count: 0
    .wavefront_size: 64
  - .args:
      - .offset:         0
        .size:           1
        .value_kind:     by_value
      - .offset:         4
        .size:           4
        .value_kind:     by_value
      - .offset:         8
        .size:           8
        .value_kind:     by_value
      - .address_space:  global
        .offset:         16
        .size:           8
        .value_kind:     global_buffer
      - .address_space:  global
        .offset:         24
        .size:           8
        .value_kind:     global_buffer
      - .offset:         32
        .size:           8
        .value_kind:     by_value
      - .offset:         40
        .size:           4
        .value_kind:     by_value
      - .offset:         48
        .size:           8
        .value_kind:     by_value
      - .address_space:  global
        .offset:         56
        .size:           8
        .value_kind:     global_buffer
      - .offset:         64
        .size:           8
        .value_kind:     by_value
      - .offset:         72
        .size:           4
        .value_kind:     by_value
      - .offset:         80
        .size:           8
        .value_kind:     by_value
      - .address_space:  global
        .offset:         88
        .size:           8
        .value_kind:     global_buffer
      - .offset:         96
        .size:           8
        .value_kind:     by_value
      - .offset:         104
        .size:           4
        .value_kind:     by_value
      - .offset:         112
        .size:           8
        .value_kind:     by_value
      - .offset:         120
        .size:           4
        .value_kind:     by_value
      - .offset:         128
        .size:           4
        .value_kind:     hidden_block_count_x
      - .offset:         132
        .size:           4
        .value_kind:     hidden_block_count_y
      - .offset:         136
        .size:           4
        .value_kind:     hidden_block_count_z
      - .offset:         140
        .size:           2
        .value_kind:     hidden_group_size_x
      - .offset:         142
        .size:           2
        .value_kind:     hidden_group_size_y
      - .offset:         144
        .size:           2
        .value_kind:     hidden_group_size_z
      - .offset:         146
        .size:           2
        .value_kind:     hidden_remainder_x
      - .offset:         148
        .size:           2
        .value_kind:     hidden_remainder_y
      - .offset:         150
        .size:           2
        .value_kind:     hidden_remainder_z
      - .offset:         168
        .size:           8
        .value_kind:     hidden_global_offset_x
      - .offset:         176
        .size:           8
        .value_kind:     hidden_global_offset_y
      - .offset:         184
        .size:           8
        .value_kind:     hidden_global_offset_z
      - .offset:         192
        .size:           2
        .value_kind:     hidden_grid_dims
    .group_segment_fixed_size: 0
    .kernarg_segment_align: 8
    .kernarg_segment_size: 384
    .language:       OpenCL C
    .language_version:
      - 2
      - 0
    .max_flat_workgroup_size: 512
    .name:           _ZL19rocblas_her2_kernelIiLi512EPK19rocblas_complex_numIdEPKS3_PKPS1_EvbimT1_T2_lT_lSA_lSB_lT3_lSB_li
    .private_segment_fixed_size: 0
    .sgpr_count:     32
    .sgpr_spill_count: 0
    .symbol:         _ZL19rocblas_her2_kernelIiLi512EPK19rocblas_complex_numIdEPKS3_PKPS1_EvbimT1_T2_lT_lSA_lSB_lT3_lSB_li.kd
    .uniform_work_group_size: 1
    .uses_dynamic_stack: false
    .vgpr_count:     22
    .vgpr_spill_count: 0
    .wavefront_size: 64
  - .args:
      - .offset:         0
        .size:           1
        .value_kind:     by_value
      - .offset:         4
        .size:           4
        .value_kind:     by_value
      - .offset:         8
        .size:           8
        .value_kind:     by_value
      - .offset:         16
        .size:           16
        .value_kind:     by_value
      - .address_space:  global
        .offset:         32
        .size:           8
        .value_kind:     global_buffer
      - .offset:         40
        .size:           8
        .value_kind:     by_value
      - .offset:         48
        .size:           4
        .value_kind:     by_value
      - .offset:         56
        .size:           8
        .value_kind:     by_value
      - .address_space:  global
        .offset:         64
        .size:           8
        .value_kind:     global_buffer
      - .offset:         72
        .size:           8
        .value_kind:     by_value
      - .offset:         80
        .size:           4
        .value_kind:     by_value
      - .offset:         88
        .size:           8
        .value_kind:     by_value
      - .address_space:  global
        .offset:         96
        .size:           8
        .value_kind:     global_buffer
      - .offset:         104
        .size:           8
        .value_kind:     by_value
      - .offset:         112
        .size:           4
        .value_kind:     by_value
      - .offset:         120
        .size:           8
        .value_kind:     by_value
      - .offset:         128
        .size:           4
        .value_kind:     by_value
      - .offset:         136
        .size:           4
        .value_kind:     hidden_block_count_x
      - .offset:         140
        .size:           4
        .value_kind:     hidden_block_count_y
      - .offset:         144
        .size:           4
        .value_kind:     hidden_block_count_z
      - .offset:         148
        .size:           2
        .value_kind:     hidden_group_size_x
      - .offset:         150
        .size:           2
        .value_kind:     hidden_group_size_y
      - .offset:         152
        .size:           2
        .value_kind:     hidden_group_size_z
      - .offset:         154
        .size:           2
        .value_kind:     hidden_remainder_x
      - .offset:         156
        .size:           2
        .value_kind:     hidden_remainder_y
      - .offset:         158
        .size:           2
        .value_kind:     hidden_remainder_z
      - .offset:         176
        .size:           8
        .value_kind:     hidden_global_offset_x
      - .offset:         184
        .size:           8
        .value_kind:     hidden_global_offset_y
      - .offset:         192
        .size:           8
        .value_kind:     hidden_global_offset_z
      - .offset:         200
        .size:           2
        .value_kind:     hidden_grid_dims
    .group_segment_fixed_size: 0
    .kernarg_segment_align: 8
    .kernarg_segment_size: 392
    .language:       OpenCL C
    .language_version:
      - 2
      - 0
    .max_flat_workgroup_size: 512
    .name:           _ZL19rocblas_her2_kernelIiLi512E19rocblas_complex_numIdEPKPKS1_PKPS1_EvbimT1_T2_lT_lSA_lSB_lT3_lSB_li
    .private_segment_fixed_size: 0
    .sgpr_count:     32
    .sgpr_spill_count: 0
    .symbol:         _ZL19rocblas_her2_kernelIiLi512E19rocblas_complex_numIdEPKPKS1_PKPS1_EvbimT1_T2_lT_lSA_lSB_lT3_lSB_li.kd
    .uniform_work_group_size: 1
    .uses_dynamic_stack: false
    .vgpr_count:     22
    .vgpr_spill_count: 0
    .wavefront_size: 64
amdhsa.target:   amdgcn-amd-amdhsa--gfx906
amdhsa.version:
  - 1
  - 2
...

	.end_amdgpu_metadata
